;; amdgpu-corpus repo=ROCm/aiter kind=harvested arch=n/a opt=n/a

/root/src/amdgpu-assembly/repos/ROCm__aiter/hsa/gfx942/fmha_v3_bwd/bwd_hd64_fp16_causal_a32_pssk.co:	file format elf64-amdgpu

Disassembly of section .text:

0000000000003e00 <_ZN5aiter34fmha_bwd_hd64_fp16_causal_a32_psskE>:
	s_and_b32 s1, s1, 0xffff                                   // 000000003E00: 8601FF01 0000FFFF
	s_load_dwordx2 s[32:33], s[0:1], 0x0                       // 000000003E08: C0060800 00000000
	s_load_dwordx2 s[36:37], s[0:1], 0x10                      // 000000003E10: C0060900 00000010
	s_load_dwordx2 s[40:41], s[0:1], 0x20                      // 000000003E18: C0060A00 00000020
	s_load_dwordx2 s[8:9], s[0:1], 0x30                        // 000000003E20: C0060200 00000030
	s_load_dwordx2 s[12:13], s[0:1], 0x40                      // 000000003E28: C0060300 00000040
	s_load_dwordx2 s[16:17], s[0:1], 0x50                      // 000000003E30: C0060400 00000050
	s_load_dwordx2 s[20:21], s[0:1], 0x60                      // 000000003E38: C0060500 00000060
	s_load_dwordx2 s[24:25], s[0:1], 0x70                      // 000000003E40: C0060600 00000070
	s_load_dwordx2 s[28:29], s[0:1], 0x80                      // 000000003E48: C0060700 00000080
	s_load_dword s47, s[0:1], 0x90                             // 000000003E50: C0020BC0 00000090
	s_load_dword s48, s[0:1], 0xa0                             // 000000003E58: C0020C00 000000A0
	s_load_dword s49, s[0:1], 0xb0                             // 000000003E60: C0020C40 000000B0
	s_load_dword s78, s[0:1], 0xd0                             // 000000003E68: C0021380 000000D0
	s_load_dword s79, s[0:1], 0xe0                             // 000000003E70: C00213C0 000000E0
	s_load_dword s5, s[0:1], 0xf0                              // 000000003E78: C0020140 000000F0
	s_load_dword s44, s[0:1], 0x100                            // 000000003E80: C0020B00 00000100
	s_load_dword s88, s[0:1], 0x110                            // 000000003E88: C0021600 00000110
	s_load_dword s89, s[0:1], 0x120                            // 000000003E90: C0021640 00000120
	s_load_dword s6, s[0:1], 0x130                             // 000000003E98: C0020180 00000130
	s_load_dword s52, s[0:1], 0x140                            // 000000003EA0: C0020D00 00000140
	s_load_dword s50, s[0:1], 0x150                            // 000000003EA8: C0020C80 00000150
	s_load_dword s100, s[0:1], 0x180                           // 000000003EB0: C0021900 00000180
	s_load_dword s90, s[0:1], 0x190                            // 000000003EB8: C0021680 00000190
	s_load_dword s91, s[0:1], 0x1a0                            // 000000003EC0: C00216C0 000001A0
	s_load_dword s7, s[0:1], 0x1b0                             // 000000003EC8: C00201C0 000001B0
	s_load_dword s92, s[0:1], 0x1c0                            // 000000003ED0: C0021700 000001C0
	s_load_dword s93, s[0:1], 0x1d0                            // 000000003ED8: C0021740 000001D0
	s_load_dword s51, s[0:1], 0x1e0                            // 000000003EE0: C0020CC0 000001E0
	s_load_dword s94, s[0:1], 0x1f0                            // 000000003EE8: C0021780 000001F0
	s_load_dword s95, s[0:1], 0x200                            // 000000003EF0: C00217C0 00000200
	s_load_dword s96, s[0:1], 0x210                            // 000000003EF8: C0021800 00000210
	s_load_dword s97, s[0:1], 0x220                            // 000000003F00: C0021840 00000220
	s_load_dword s53, s[0:1], 0x230                            // 000000003F08: C0020D40 00000230
	v_lshrrev_b32_e32 v1, 10, v0                               // 000000003F10: 2002008A
	v_lshrrev_b32_e32 v2, 10, v1                               // 000000003F14: 2004028A
	v_and_b32_e32 v2, 0x3ff, v2                                // 000000003F18: 260404FF 000003FF
	v_and_b32_e32 v1, 0x3ff, v1                                // 000000003F20: 260202FF 000003FF
	v_and_b32_e32 v0, 0x3ff, v0                                // 000000003F28: 260000FF 000003FF
	v_lshrrev_b32_e32 v3, 6, v0                                // 000000003F30: 20060086
	v_and_b32_e32 v0, 63, v0                                   // 000000003F34: 260000BF
	s_mov_b32 s2, s2                                           // 000000003F38: BE820002
	s_mov_b32 s3, s3                                           // 000000003F3C: BE830003
	s_mov_b32 s4, s4                                           // 000000003F40: BE840004
	v_readfirstlane_b32 s46, v3                                // 000000003F44: 7E5C0503
	s_waitcnt lgkmcnt(0)                                       // 000000003F48: BF8CC07F
	s_mov_b32 s11, 0x20000                                     // 000000003F4C: BE8B00FF 00020000
	s_mov_b32 s15, 0x20000                                     // 000000003F54: BE8F00FF 00020000
	s_mov_b32 s19, 0x20000                                     // 000000003F5C: BE9300FF 00020000
	s_mov_b32 s23, 0x20000                                     // 000000003F64: BE9700FF 00020000
	s_mov_b32 s27, 0x20000                                     // 000000003F6C: BE9B00FF 00020000
	s_mov_b32 s31, 0x20000                                     // 000000003F74: BE9F00FF 00020000
	s_mov_b32 s35, 0x20000                                     // 000000003F7C: BEA300FF 00020000
	s_mov_b32 s39, 0x20000                                     // 000000003F84: BEA700FF 00020000
	s_mov_b32 s43, 0x20000                                     // 000000003F8C: BEAB00FF 00020000
	s_and_b32 s9, s9, 0xffff                                   // 000000003F94: 8609FF09 0000FFFF
	s_and_b32 s13, s13, 0xffff                                 // 000000003F9C: 860DFF0D 0000FFFF
	s_and_b32 s17, s17, 0xffff                                 // 000000003FA4: 8611FF11 0000FFFF
	s_and_b32 s21, s21, 0xffff                                 // 000000003FAC: 8615FF15 0000FFFF
	s_and_b32 s25, s25, 0xffff                                 // 000000003FB4: 8619FF19 0000FFFF
	s_and_b32 s29, s29, 0xffff                                 // 000000003FBC: 861DFF1D 0000FFFF
	s_and_b32 s33, s33, 0xffff                                 // 000000003FC4: 8621FF21 0000FFFF
	s_and_b32 s37, s37, 0xffff                                 // 000000003FCC: 8625FF25 0000FFFF
	s_and_b32 s41, s41, 0xffff                                 // 000000003FD4: 8629FF29 0000FFFF
	s_or_b32 s9, s9, 0x40000                                   // 000000003FDC: 8709FF09 00040000
	s_or_b32 s13, s13, 0x40000                                 // 000000003FE4: 870DFF0D 00040000
	s_or_b32 s17, s17, 0x40000                                 // 000000003FEC: 8711FF11 00040000
	s_or_b32 s21, s21, 0x40000                                 // 000000003FF4: 8715FF15 00040000
	s_or_b32 s25, s25, 0x40000                                 // 000000003FFC: 8719FF19 00040000
	s_or_b32 s29, s29, 0x40000                                 // 000000004004: 871DFF1D 00040000
	s_or_b32 s33, s33, 0x40000                                 // 00000000400C: 8721FF21 00040000
	s_or_b32 s37, s37, 0x40000                                 // 000000004014: 8725FF25 00040000
	s_or_b32 s41, s41, 0x40000                                 // 00000000401C: 8729FF29 00040000
	v_accvgpr_write_b32 a159, 0                                // 000000004024: D3D9409F 18000080
	v_mov_b32_e32 v231, 0                                      // 00000000402C: 7FCE0280
	s_mov_b32 s71, s3                                          // 000000004030: BEC70003
	v_cvt_f32_u32_e32 v32, s44                                 // 000000004034: 7E400C2C
	s_sub_i32 s60, 0, s44                                      // 000000004038: 81BC2C80
	v_rcp_iflag_f32_e32 v32, v32                               // 00000000403C: 7E404720
	s_nop 0                                                    // 000000004040: BF800000
	v_mul_f32_e32 v32, 0x4f7ffffe, v32                         // 000000004044: 0A4040FF 4F7FFFFE
	v_cvt_u32_f32_e32 v32, v32                                 // 00000000404C: 7E400F20
	v_mul_lo_u32 v33, s60, v32                                 // 000000004050: D2850021 0002403C
	v_mul_hi_u32 v33, v32, v33                                 // 000000004058: D2860021 00024320
	v_add_u32_e32 v32, v32, v33                                // 000000004060: 68404320
	v_mul_hi_u32 v32, s71, v32                                 // 000000004064: D2860020 00024047
	v_mul_lo_u32 v33, v32, s44                                 // 00000000406C: D2850021 00005920
	v_sub_u32_e32 v35, s71, v33                                // 000000004074: 6A464247
	v_add_u32_e32 v34, 1, v32                                  // 000000004078: 68444081
	v_cmp_le_u32_e32 vcc, s44, v35                             // 00000000407C: 7D96462C
	v_subrev_u32_e32 v33, s44, v35                             // 000000004080: 6C42462C
	s_nop 0                                                    // 000000004084: BF800000
	v_cndmask_b32_e32 v32, v32, v34, vcc                       // 000000004088: 00404520
	v_cndmask_b32_e32 v35, v35, v33, vcc                       // 00000000408C: 00464323
	v_add_u32_e32 v33, 1, v32                                  // 000000004090: 68424081
	v_cmp_le_u32_e32 vcc, s44, v35                             // 000000004094: 7D96462C
	s_nop 1                                                    // 000000004098: BF800001
	v_cndmask_b32_e32 v35, v32, v33, vcc                       // 00000000409C: 00464320
	s_nop 3                                                    // 0000000040A0: BF800003
	v_readfirstlane_b32 s45, v35                               // 0000000040A4: 7E5A0523
	s_nop 3                                                    // 0000000040A8: BF800003
	s_mul_i32 s61, s45, s88                                    // 0000000040AC: 923D582D
	s_mov_b32 s54, s61                                         // 0000000040B0: BEB6003D
	s_add_u32 s12, s54, s12                                    // 0000000040B4: 800C0C36
	s_addc_u32 s13, 0, s13                                     // 0000000040B8: 820D0D80
	s_mul_i32 s60, s4, s89                                     // 0000000040BC: 923C5904
	s_mul_hi_u32 s61, s4, s89                                  // 0000000040C0: 963D5904
	s_and_b32 s61, s61, 0xffff                                 // 0000000040C4: 863DFF3D 0000FFFF
	s_add_u32 s12, s12, s60                                    // 0000000040CC: 800C3C0C
	s_addc_u32 s13, s13, s61                                   // 0000000040D0: 820D3D0D
	s_mul_i32 s61, s45, s90                                    // 0000000040D4: 923D5A2D
	s_mov_b32 s54, s61                                         // 0000000040D8: BEB6003D
	s_add_u32 s16, s54, s16                                    // 0000000040DC: 80101036
	s_addc_u32 s17, 0, s17                                     // 0000000040E0: 82111180
	s_mul_i32 s60, s4, s91                                     // 0000000040E4: 923C5B04
	s_mul_hi_u32 s61, s4, s91                                  // 0000000040E8: 963D5B04
	s_and_b32 s61, s61, 0xffff                                 // 0000000040EC: 863DFF3D 0000FFFF
	s_add_u32 s16, s16, s60                                    // 0000000040F4: 80103C10
	s_addc_u32 s17, s17, s61                                   // 0000000040F8: 82113D11
	s_mul_i32 s61, s3, s78                                     // 0000000040FC: 923D4E03
	s_mov_b32 s55, s61                                         // 000000004100: BEB7003D
	s_add_u32 s8, s55, s8                                      // 000000004104: 80080837
	s_addc_u32 s9, 0, s9                                       // 000000004108: 82090980
	s_mul_i32 s60, s4, s79                                     // 00000000410C: 923C4F04
	s_mul_hi_u32 s61, s4, s79                                  // 000000004110: 963D4F04
	s_and_b32 s61, s61, 0xffff                                 // 000000004114: 863DFF3D 0000FFFF
	s_add_u32 s8, s8, s60                                      // 00000000411C: 80083C08
	s_addc_u32 s9, s9, s61                                     // 000000004120: 82093D09
	s_mul_i32 s61, s3, s92                                     // 000000004124: 923D5C03
	s_mov_b32 s56, s61                                         // 000000004128: BEB8003D
	s_add_u32 s20, s56, s20                                    // 00000000412C: 80141438
	s_addc_u32 s21, 0, s21                                     // 000000004130: 82151580
	s_mul_i32 s60, s4, s93                                     // 000000004134: 923C5D04
	s_mul_hi_u32 s61, s4, s93                                  // 000000004138: 963D5D04
	s_and_b32 s61, s61, 0xffff                                 // 00000000413C: 863DFF3D 0000FFFF
	s_add_u32 s20, s20, s60                                    // 000000004144: 80143C14
	s_addc_u32 s21, s21, s61                                   // 000000004148: 82153D15
	s_mul_i32 s62, s4, s100                                    // 00000000414C: 923E6404
	s_mul_i32 s62, s62, s49                                    // 000000004150: 923E313E
	s_lshl_b32 s62, s62, 2                                     // 000000004154: 8E3E823E
	s_mul_i32 s61, s3, s49                                     // 000000004158: 923D3103
	s_mul_i32 s61, 4, s61                                      // 00000000415C: 923D3D84
	s_add_u32 s65, s61, s62                                    // 000000004160: 80413E3D
	s_mov_b32 s26, s49                                         // 000000004164: BE9A0031
	s_mov_b32 s30, s49                                         // 000000004168: BE9E0031
	s_add_u32 s24, s65, s24                                    // 00000000416C: 80181841
	s_addc_u32 s25, 0, s25                                     // 000000004170: 82191980
	s_add_u32 s28, s65, s28                                    // 000000004174: 801C1C41
	s_addc_u32 s29, 0, s29                                     // 000000004178: 821D1D80
	s_mul_i32 s61, s3, s94                                     // 00000000417C: 923D5E03
	s_mul_i32 s62, s4, s95                                     // 000000004180: 923E5F04
	s_add_u32 s60, s61, s62                                    // 000000004184: 803C3E3D
	s_mul_hi_u32 s61, s4, s95                                  // 000000004188: 963D5F04
	s_and_b32 s61, s61, 0xffff                                 // 00000000418C: 863DFF3D 0000FFFF
	s_add_u32 s36, s60, s36                                    // 000000004194: 8024243C
	s_addc_u32 s37, s61, s37                                   // 000000004198: 8225253D
	s_mul_i32 s60, s50, s52                                    // 00000000419C: 923C3432
	s_lshr_b32 s60, s60, 2                                     // 0000000041A0: 8F3C823C
	s_mov_b32 s38, s60                                         // 0000000041A4: BEA6003C
	s_mul_i32 s61, s3, s96                                     // 0000000041A8: 923D6003
	s_mul_i32 s62, s4, s97                                     // 0000000041AC: 923E6104
	s_add_u32 s60, s61, s62                                    // 0000000041B0: 803C3E3D
	s_mul_hi_u32 s61, s4, s97                                  // 0000000041B4: 963D6104
	s_and_b32 s61, s61, 0xffff                                 // 0000000041B8: 863DFF3D 0000FFFF
	s_add_u32 s40, s60, s40                                    // 0000000041C0: 8028283C
	s_addc_u32 s41, s61, s41                                   // 0000000041C4: 8229293D
	s_mul_i32 s60, s50, s53                                    // 0000000041C8: 923C3532
	s_lshr_b32 s60, s60, 2                                     // 0000000041CC: 8F3C823C
	s_mov_b32 s42, s60                                         // 0000000041D0: BEAA003C
	s_mul_i32 s60, 64, s65                                     // 0000000041D4: 923C41C0
	s_mul_hi_u32 s61, 64, s65                                  // 0000000041D8: 963D41C0
	s_and_b32 s61, s61, 0xffff                                 // 0000000041DC: 863DFF3D 0000FFFF
	s_add_u32 s32, s60, s32                                    // 0000000041E4: 8020203C
	s_addc_u32 s33, s61, s33                                   // 0000000041E8: 8221213D
	s_mul_i32 s60, 64, s49                                     // 0000000041EC: 923C31C0
	s_mov_b32 s34, s60                                         // 0000000041F0: BEA2003C
	s_mov_b32 s80, s8                                          // 0000000041F4: BED00008
	s_mov_b32 s82, s12                                         // 0000000041F8: BED2000C
	s_mov_b32 s84, s16                                         // 0000000041FC: BED40010
	s_mov_b32 s86, s20                                         // 000000004200: BED60014
	s_mov_b32 s81, s9                                          // 000000004204: BED10009
	s_mov_b32 s83, s13                                         // 000000004208: BED3000D
	s_mov_b32 s85, s17                                         // 00000000420C: BED50011
	s_mov_b32 s87, s21                                         // 000000004210: BED70015
	s_add_u32 s71, 0xbf, s50                                   // 000000004214: 804732FF 000000BF
	s_mov_b32 s74, 0xc0                                        // 00000000421C: BECA00FF 000000C0
	v_cvt_f32_u32_e32 v32, s74                                 // 000000004224: 7E400C4A
	s_sub_i32 s60, 0, s74                                      // 000000004228: 81BC4A80
	v_rcp_iflag_f32_e32 v32, v32                               // 00000000422C: 7E404720
	s_nop 0                                                    // 000000004230: BF800000
	v_mul_f32_e32 v32, 0x4f7ffffe, v32                         // 000000004234: 0A4040FF 4F7FFFFE
	v_cvt_u32_f32_e32 v32, v32                                 // 00000000423C: 7E400F20
	v_mul_lo_u32 v33, s60, v32                                 // 000000004240: D2850021 0002403C
	v_mul_hi_u32 v33, v32, v33                                 // 000000004248: D2860021 00024320
	v_add_u32_e32 v32, v32, v33                                // 000000004250: 68404320
	v_mul_hi_u32 v32, s71, v32                                 // 000000004254: D2860020 00024047
	v_mul_lo_u32 v33, v32, s74                                 // 00000000425C: D2850021 00009520
	v_sub_u32_e32 v35, s71, v33                                // 000000004264: 6A464247
	v_add_u32_e32 v34, 1, v32                                  // 000000004268: 68444081
	v_cmp_le_u32_e32 vcc, s74, v35                             // 00000000426C: 7D96464A
	v_subrev_u32_e32 v33, s74, v35                             // 000000004270: 6C42464A
	s_nop 0                                                    // 000000004274: BF800000
	v_cndmask_b32_e32 v32, v32, v34, vcc                       // 000000004278: 00404520
	v_cndmask_b32_e32 v35, v35, v33, vcc                       // 00000000427C: 00464323
	v_add_u32_e32 v33, 1, v32                                  // 000000004280: 68424081
	v_cmp_le_u32_e32 vcc, s74, v35                             // 000000004284: 7D96464A
	s_nop 1                                                    // 000000004288: BF800001
	v_cndmask_b32_e32 v35, v32, v33, vcc                       // 00000000428C: 00464320
	s_nop 3                                                    // 000000004290: BF800003
	v_readfirstlane_b32 s77, v35                               // 000000004294: 7E9A0523
	s_nop 3                                                    // 000000004298: BF800003
	v_mov_b32_e32 v32, s47                                     // 00000000429C: 7E40022F
	v_mul_f32_e32 v32, s48, v32                                // 0000000042A0: 0A404030
	s_mov_b32 s58, s49                                         // 0000000042A4: BEBA0031
	s_mov_b32 s59, 0                                           // 0000000042A8: BEBB0080
	s_mov_b32 s63, 0x5040100                                   // 0000000042AC: BEBF00FF 05040100
	s_mov_b32 s64, 0x7060302                                   // 0000000042B4: BEC000FF 07060302
	v_readfirstlane_b32 s57, v32                               // 0000000042BC: 7E720520
	v_mov_b32_e32 v34, 0x3020706                               // 0000000042C0: 7E4402FF 03020706
	v_mov_b32_e32 v32, s63                                     // 0000000042C8: 7E40023F
	v_and_b32_e32 v33, 1, v0                                   // 0000000042CC: 26420081
	v_cmp_eq_u32_e32 vcc, 1, v33                               // 0000000042D0: 7D944281
	s_mov_b32 s67, 0x800                                       // 0000000042D4: BEC300FF 00000800
	v_cndmask_b32_e32 v17, v32, v34, vcc                       // 0000000042DC: 00224520
	s_cmp_lt_u32 s46, 2                                        // 0000000042E0: BF0A822E
	s_cselect_b32 s24, s24, s28                                // 0000000042E4: 85181C18
	s_cselect_b32 s25, s25, s29                                // 0000000042E8: 85191D19
	s_cselect_b32 s26, s26, s30                                // 0000000042EC: 851A1E1A
	s_cselect_b32 s27, s27, s31                                // 0000000042F0: 851B1F1B
	s_lshr_b32 s60, s46, 1                                     // 0000000042F4: 8F3C812E
	s_lshl_b32 s60, s60, 8                                     // 0000000042F8: 8E3C883C
	s_add_u32 s78, 0x9a00, s60                                 // 0000000042FC: 804E3CFF 00009A00
	s_add_u32 s79, 0x200, s78                                  // 000000004304: 804F4EFF 00000200
	s_mov_b32 m0, s78                                          // 00000000430C: BEFC004E
	s_mov_b32 s75, 0                                           // 000000004310: BECB0080
	s_mov_b32 s76, 1                                           // 000000004314: BECC0081
	s_lshl_b32 s60, s2, 1                                      // 000000004318: 8E3C8102
	s_add_u32 s60, 1, s60                                      // 00000000431C: 803C3C81
	s_cmp_ge_i32 s60, s77                                      // 000000004320: BF034D3C
	s_cselect_b32 s76, s76, 2                                  // 000000004324: 854C824C

0000000000004328 <label_014A>:
	s_mov_b32 m0, s78                                          // 000000004328: BEFC004E
	s_mov_b32 s66, 0                                           // 00000000432C: BEC20080
	v_mov_b32_e32 v178, 0xff800000                             // 000000004330: 7F6402FF FF800000
	s_mov_b32 s74, 0                                           // 000000004338: BECA0080
	s_mul_i32 s68, 8, s5                                       // 00000000433C: 92440588
	s_mul_i32 s99, 8, s51                                      // 000000004340: 92633388
	s_mov_b32 s69, 32                                          // 000000004344: BEC500A0
	s_mul_i32 s59, 0xc0, s2                                    // 000000004348: 923B02FF 000000C0
	s_mul_i32 s54, s6, s59                                     // 000000004350: 92363B06
	s_sub_i32 s61, s50, s59                                    // 000000004354: 81BD3B32
	s_mul_i32 s62, s6, s61                                     // 000000004358: 923E3D06
	s_lshr_b32 s62, s62, 2                                     // 00000000435C: 8F3E823E
	s_mov_b32 s14, s62                                         // 000000004360: BE8E003E
	s_add_u32 s12, s54, s82                                    // 000000004364: 800C5236
	s_addc_u32 s13, 0, s83                                     // 000000004368: 820D5380
	s_mul_i32 s54, s7, s59                                     // 00000000436C: 92363B07
	s_mul_i32 s62, s7, s61                                     // 000000004370: 923E3D07
	s_lshr_b32 s62, s62, 2                                     // 000000004374: 8F3E823E
	s_mov_b32 s18, s62                                         // 000000004378: BE92003E
	s_add_u32 s16, s54, s84                                    // 00000000437C: 80105436
	s_addc_u32 s17, 0, s85                                     // 000000004380: 82115580
	s_mov_b32 s71, s6                                          // 000000004384: BEC70006
	v_lshrrev_b32_e32 v32, 4, v0                               // 000000004388: 20400084
	v_and_b32_e32 v33, 1, v32                                  // 00000000438C: 26424081
	v_lshlrev_b32_e32 v33, 1, v33                              // 000000004390: 24424281
	v_mul_i32_i24_e32 v33, s71, v33                            // 000000004394: 0C424247
	v_and_b32_e32 v34, 2, v32                                  // 000000004398: 26444082
	v_lshlrev_b32_e32 v34, 5, v34                              // 00000000439C: 24444485
	v_add_u32_e32 v33, v34, v33                                // 0000000043A0: 68424322
	v_and_b32_e32 v32, 15, v0                                  // 0000000043A4: 2640008F
	v_lshlrev_b32_e32 v32, 2, v32                              // 0000000043A8: 24404082
	v_add_u32_e32 v1, v32, v33                                 // 0000000043AC: 68024320
	s_mul_i32 s60, s46, s71                                    // 0000000043B0: 923C472E
	s_mul_i32 s60, s60, 4                                      // 0000000043B4: 923C843C
	v_add_u32_e32 v1, s60, v1                                  // 0000000043B8: 6802023C
	v_add_u32_e32 v2, s71, v1                                  // 0000000043BC: 68040247
	s_mul_i32 s60, 16, s71                                     // 0000000043C0: 923C4790
	v_add_u32_e32 v3, s60, v1                                  // 0000000043C4: 6806023C
	v_add_u32_e32 v4, s60, v2                                  // 0000000043C8: 6808043C
	s_mov_b32 s71, s7                                          // 0000000043CC: BEC70007
	v_lshrrev_b32_e32 v32, 4, v0                               // 0000000043D0: 20400084
	v_and_b32_e32 v33, 1, v32                                  // 0000000043D4: 26424081
	v_lshlrev_b32_e32 v33, 1, v33                              // 0000000043D8: 24424281
	v_mul_i32_i24_e32 v33, s71, v33                            // 0000000043DC: 0C424247
	v_and_b32_e32 v34, 2, v32                                  // 0000000043E0: 26444082
	v_lshlrev_b32_e32 v34, 5, v34                              // 0000000043E4: 24444485
	v_add_u32_e32 v33, v34, v33                                // 0000000043E8: 68424322
	v_and_b32_e32 v32, 15, v0                                  // 0000000043EC: 2640008F
	v_lshlrev_b32_e32 v32, 2, v32                              // 0000000043F0: 24404082
	v_add_u32_e32 v228, v32, v33                               // 0000000043F4: 69C84320
	s_mul_i32 s60, s46, s71                                    // 0000000043F8: 923C472E
	s_mul_i32 s60, s60, 4                                      // 0000000043FC: 923C843C
	v_add_u32_e32 v228, s60, v228                              // 000000004400: 69C9C83C
	v_add_u32_e32 v229, s71, v228                              // 000000004404: 69CBC847
	s_mul_i32 s60, 16, s71                                     // 000000004408: 923C4790
	v_add_u32_e32 v230, s60, v228                              // 00000000440C: 69CDC83C
	v_add_u32_e32 v231, s60, v229                              // 000000004410: 69CFCA3C
	v_lshrrev_b32_e32 v1, 2, v1                                // 000000004414: 20020282
	v_lshrrev_b32_e32 v2, 2, v2                                // 000000004418: 20040482
	v_lshrrev_b32_e32 v228, 2, v228                            // 00000000441C: 21C9C882
	v_lshrrev_b32_e32 v229, 2, v229                            // 000000004420: 21CBCA82
	s_mov_b32 s70, s52                                         // 000000004424: BEC60034
	v_lshrrev_b32_e32 v32, 3, v0                               // 000000004428: 20400083
	v_mul_i32_i24_e32 v5, s70, v32                             // 00000000442C: 0C0A4046
	v_lshrrev_b32_e32 v5, 2, v5                                // 000000004430: 200A0A82
	v_and_b32_e32 v32, 7, v0                                   // 000000004434: 26400087
	v_lshlrev_b32_e32 v33, 2, v32                              // 000000004438: 24424082
	v_add_u32_e32 v5, v33, v5                                  // 00000000443C: 680A0B21
	s_mul_i32 s60, 16, s70                                     // 000000004440: 923C4690
	s_mul_i32 s60, s46, s60                                    // 000000004444: 923C3C2E
	v_lshlrev_b32_e32 v5, 2, v5                                // 000000004448: 240A0A82
	v_add_u32_e32 v5, s60, v5                                  // 00000000444C: 680A0A3C
	s_mul_i32 s60, s52, s59                                    // 000000004450: 923C3B34
	v_add_u32_e32 v5, s60, v5                                  // 000000004454: 680A0A3C
	v_lshrrev_b32_e32 v5, 2, v5                                // 000000004458: 200A0A82
	s_mov_b32 s70, s53                                         // 00000000445C: BEC60035
	v_lshrrev_b32_e32 v32, 3, v0                               // 000000004460: 20400083
	v_mul_i32_i24_e32 v10, s70, v32                            // 000000004464: 0C144046
	v_lshrrev_b32_e32 v10, 2, v10                              // 000000004468: 20141482
	v_and_b32_e32 v32, 7, v0                                   // 00000000446C: 26400087
	v_lshlrev_b32_e32 v33, 2, v32                              // 000000004470: 24424082
	v_add_u32_e32 v10, v33, v10                                // 000000004474: 68141521
	s_mul_i32 s60, 16, s70                                     // 000000004478: 923C4690
	s_mul_i32 s60, s46, s60                                    // 00000000447C: 923C3C2E
	v_lshlrev_b32_e32 v10, 2, v10                              // 000000004480: 24141482
	v_add_u32_e32 v10, s60, v10                                // 000000004484: 6814143C
	s_mul_i32 s60, s53, s59                                    // 000000004488: 923C3B35
	v_add_u32_e32 v10, s60, v10                                // 00000000448C: 6814143C
	v_lshrrev_b32_e32 v10, 2, v10                              // 000000004490: 20141482
	s_cmp_ge_i32 s59, s49                                      // 000000004494: BF03313B
	s_cselect_b32 s59, s49, s59                                // 000000004498: 853B3B31
	s_add_u32 s73, 32, s59                                     // 00000000449C: 80493BA0
	s_mul_i32 s55, s5, s59                                     // 0000000044A0: 92373B05
	s_sub_i32 s61, s49, s59                                    // 0000000044A4: 81BD3B31
	s_mul_i32 s62, s5, s61                                     // 0000000044A8: 923E3D05
	s_lshr_b32 s62, s62, 2                                     // 0000000044AC: 8F3E823E
	s_mov_b32 s10, s62                                         // 0000000044B0: BE8A003E
	s_add_u32 s8, s55, s80                                     // 0000000044B4: 80085037
	s_addc_u32 s9, 0, s81                                      // 0000000044B8: 82095180
	s_mul_i32 s56, s51, s59                                    // 0000000044BC: 92383B33
	s_mul_i32 s62, s51, s61                                    // 0000000044C0: 923E3D33
	s_lshr_b32 s62, s62, 2                                     // 0000000044C4: 8F3E823E
	s_mov_b32 s22, s62                                         // 0000000044C8: BE96003E
	s_add_u32 s20, s56, s86                                    // 0000000044CC: 80145638
	s_addc_u32 s21, 0, s87                                     // 0000000044D0: 82155780
	s_mul_i32 s65, s59, 4                                      // 0000000044D4: 9241843B
	v_and_b32_e32 v11, 31, v0                                  // 0000000044D8: 2616009F
	v_lshlrev_b32_e32 v11, 2, v11                              // 0000000044DC: 24161682
	v_add_u32_e32 v11, s65, v11                                // 0000000044E0: 68161641
	v_lshrrev_b32_e32 v11, 2, v11                              // 0000000044E4: 20161682
	v_lshrrev_b32_e32 v32, 5, v0                               // 0000000044E8: 20400085
	v_mul_i32_i24_e32 v6, 0x80, v32                            // 0000000044EC: 0C0C40FF 00000080
	v_and_b32_e32 v32, 31, v0                                  // 0000000044F4: 2640009F
	v_add_u32_e32 v6, v32, v6                                  // 0000000044F8: 680C0D20
	s_mul_i32 s60, s46, 0x100                                  // 0000000044FC: 923CFF2E 00000100
	v_add_u32_e32 v6, s60, v6                                  // 000000004504: 680C0C3C
	v_lshlrev_b32_e32 v6, 2, v6                                // 000000004508: 240C0C82
	v_add_u32_e32 v7, 0x100, v6                                // 00000000450C: 680E0CFF 00000100
	v_add_u32_e32 v8, 0x1000, v6                               // 000000004514: 68100CFF 00001000
	v_add_u32_e32 v9, 0x1000, v7                               // 00000000451C: 68120EFF 00001000
	s_mul_i32 s60, 64, s65                                     // 000000004524: 923C41C0
	v_add_u32_e32 v6, s60, v6                                  // 000000004528: 680C0C3C
	v_lshrrev_b32_e32 v6, 2, v6                                // 00000000452C: 200C0C82
	v_add_u32_e32 v7, s60, v7                                  // 000000004530: 680E0E3C
	v_lshrrev_b32_e32 v7, 2, v7                                // 000000004534: 200E0E82
	v_add_u32_e32 v8, s60, v8                                  // 000000004538: 6810103C
	v_lshrrev_b32_e32 v8, 2, v8                                // 00000000453C: 20101082
	v_add_u32_e32 v9, s60, v9                                  // 000000004540: 6812123C
	v_lshrrev_b32_e32 v9, 2, v9                                // 000000004544: 20121282
	s_mul_i32 s60, 3, s2                                       // 000000004548: 923C0283
	s_add_u32 s61, s50, 63                                     // 00000000454C: 803DBF32
	s_lshr_b32 s61, s61, 6                                     // 000000004550: 8F3D863D
	s_sub_i32 s72, s61, s60                                    // 000000004554: 81C83C3D
	s_cmp_lt_i32 s72, 3                                        // 000000004558: BF048348
	s_cselect_b32 s72, s72, 3                                  // 00000000455C: 85488348
	s_mul_i32 s60, 0xc0, s2                                    // 000000004560: 923C02FF 000000C0
	s_sub_i32 s101, s50, s60                                   // 000000004568: 81E53C32
	v_and_b32_e32 v32, 31, v0                                  // 00000000456C: 2640009F
	v_lshrrev_b32_e32 v32, 1, v32                              // 000000004570: 20404081
	v_and_b32_e32 v33, 1, v32                                  // 000000004574: 26424081
	v_lshlrev_b32_e32 v33, 4, v33                              // 000000004578: 24424284
	v_and_b32_e32 v34, 2, v32                                  // 00000000457C: 26444082
	v_lshlrev_b32_e32 v34, 2, v34                              // 000000004580: 24444482
	v_add_u32_e32 v33, v34, v33                                // 000000004584: 68424322
	v_and_b32_e32 v34, 12, v32                                 // 000000004588: 2644408C
	v_lshrrev_b32_e32 v34, 1, v34                              // 00000000458C: 20444481
	v_add_u32_e32 v33, v34, v33                                // 000000004590: 68424322
	v_lshrrev_b32_e32 v32, 5, v0                               // 000000004594: 20400085
	v_mul_i32_i24_e32 v34, 0x80, v32                           // 000000004598: 0C4440FF 00000080
	v_add_u32_e32 v33, v34, v33                                // 0000000045A0: 68424322
	v_and_b32_e32 v34, 1, v0                                   // 0000000045A4: 26440081
	v_add_u32_e32 v13, v34, v33                                // 0000000045A8: 681A4322
	s_mul_i32 s60, s46, 32                                     // 0000000045AC: 923CA02E
	v_add_u32_e32 v13, s60, v13                                // 0000000045B0: 681A1A3C
	v_lshlrev_b32_e32 v13, 2, v13                              // 0000000045B4: 241A1A82
	v_lshrrev_b32_e32 v32, 4, v0                               // 0000000045B8: 20400084
	v_and_b32_e32 v33, 1, v32                                  // 0000000045BC: 26424081
	v_lshlrev_b32_e32 v33, 4, v33                              // 0000000045C0: 24424284
	v_and_b32_e32 v34, 2, v32                                  // 0000000045C4: 26444082
	v_mul_i32_i24_e32 v34, 4, v34                              // 0000000045C8: 0C444484
	v_add_u32_e32 v33, v34, v33                                // 0000000045CC: 68424322
	v_and_b32_e32 v32, 15, v0                                  // 0000000045D0: 2640008F
	v_lshrrev_b32_e32 v34, 2, v32                              // 0000000045D4: 20444082
	v_lshlrev_b32_e32 v34, 5, v34                              // 0000000045D8: 24444485
	v_add_u32_e32 v33, v34, v33                                // 0000000045DC: 68424322
	v_and_b32_e32 v32, 3, v0                                   // 0000000045E0: 26400083
	v_and_b32_e32 v34, 1, v32                                  // 0000000045E4: 26444081
	v_mul_i32_i24_e32 v34, 0x108, v34                          // 0000000045E8: 0C4444FF 00000108
	v_add_u32_e32 v33, v34, v33                                // 0000000045F0: 68424322
	v_and_b32_e32 v34, 2, v32                                  // 0000000045F4: 26444082
	v_lshlrev_b32_e32 v34, 1, v34                              // 0000000045F8: 24444481
	v_add_u32_e32 v12, v34, v33                                // 0000000045FC: 68184322
	v_lshlrev_b32_e32 v12, 2, v12                              // 000000004600: 24181882
	s_mul_i32 s60, s46, 0x880                                  // 000000004604: 923CFF2E 00000880
	v_add_u32_e32 v24, s60, v12                                // 00000000460C: 6830183C
	v_lshrrev_b32_e32 v32, 5, v0                               // 000000004610: 20400085
	v_mul_i32_i24_e32 v15, 0x80, v32                           // 000000004614: 0C1E40FF 00000080
	v_and_b32_e32 v32, 31, v0                                  // 00000000461C: 2640009F
	v_and_b32_e32 v33, 7, v32                                  // 000000004620: 26424087
	v_and_b32_e32 v34, 1, v33                                  // 000000004624: 26444281
	v_lshlrev_b32_e32 v34, 2, v34                              // 000000004628: 24444482
	v_add_u32_e32 v15, v34, v15                                // 00000000462C: 681E1F22
	v_and_b32_e32 v34, 2, v33                                  // 000000004630: 26444282
	v_lshlrev_b32_e32 v34, 3, v34                              // 000000004634: 24444483
	v_add_u32_e32 v15, v34, v15                                // 000000004638: 681E1F22
	v_and_b32_e32 v34, 4, v33                                  // 00000000463C: 26444284
	v_lshlrev_b32_e32 v34, 1, v34                              // 000000004640: 24444481
	v_add_u32_e32 v15, v34, v15                                // 000000004644: 681E1F22
	v_lshrrev_b32_e32 v33, 3, v32                              // 000000004648: 20424083
	v_and_b32_e32 v34, 1, v33                                  // 00000000464C: 26444281
	v_lshlrev_b32_e32 v34, 1, v34                              // 000000004650: 24444481
	v_add_u32_e32 v15, v34, v15                                // 000000004654: 681E1F22
	v_and_b32_e32 v34, 2, v33                                  // 000000004658: 26444282
	v_lshrrev_b32_e32 v34, 1, v34                              // 00000000465C: 20444481
	v_add_u32_e32 v15, v34, v15                                // 000000004660: 681E1F22
	s_mul_i32 s60, s46, 32                                     // 000000004664: 923CA02E
	v_add_u32_e32 v15, s60, v15                                // 000000004668: 681E1E3C
	v_lshlrev_b32_e32 v15, 2, v15                              // 00000000466C: 241E1E82
	v_and_b32_e32 v32, 15, v0                                  // 000000004670: 2640008F
	v_and_b32_e32 v34, 1, v32                                  // 000000004674: 26444081
	v_mul_i32_i24_e32 v14, 0x108, v34                          // 000000004678: 0C1C44FF 00000108
	v_and_b32_e32 v34, 2, v32                                  // 000000004680: 26444082
	v_lshlrev_b32_e32 v34, 1, v34                              // 000000004684: 24444481
	v_add_u32_e32 v14, v34, v14                                // 000000004688: 681C1D22
	v_and_b32_e32 v34, 4, v32                                  // 00000000468C: 26444084
	v_lshlrev_b32_e32 v34, 2, v34                              // 000000004690: 24444482
	v_add_u32_e32 v14, v34, v14                                // 000000004694: 681C1D22
	v_and_b32_e32 v34, 8, v32                                  // 000000004698: 26444088
	v_add_u32_e32 v14, v34, v14                                // 00000000469C: 681C1D22
	v_lshrrev_b32_e32 v32, 4, v0                               // 0000000046A0: 20400084
	v_and_b32_e32 v34, 1, v32                                  // 0000000046A4: 26444081
	v_lshlrev_b32_e32 v34, 5, v34                              // 0000000046A8: 24444485
	v_add_u32_e32 v14, v34, v14                                // 0000000046AC: 681C1D22
	v_and_b32_e32 v33, 2, v32                                  // 0000000046B0: 26424082
	v_mul_i32_i24_e32 v34, 32, v33                             // 0000000046B4: 0C4442A0
	v_mul_i32_i24_e32 v33, 0x110, v33                          // 0000000046B8: 0C4242FF 00000110
	v_add_u32_e32 v25, v33, v14                                // 0000000046C0: 68321D21
	v_add_u32_e32 v14, v34, v14                                // 0000000046C4: 681C1D22
	v_lshlrev_b32_e32 v14, 2, v14                              // 0000000046C8: 241C1C82
	v_lshlrev_b32_e32 v25, 2, v25                              // 0000000046CC: 24323282
	s_and_b32 s60, 1, s46                                      // 0000000046D0: 863C2E81
	s_mul_i32 s60, s60, 0x200                                  // 0000000046D4: 923CFF3C 00000200
	v_add_u32_e32 v25, s60, v25                                // 0000000046DC: 6832323C
	v_lshrrev_b32_e32 v32, 4, v0                               // 0000000046E0: 20400084
	v_mul_i32_i24_e32 v23, 4, v32                              // 0000000046E4: 0C2E4084
	v_and_b32_e32 v33, 3, v0                                   // 0000000046E8: 26420083
	v_add_u32_e32 v23, v33, v23                                // 0000000046EC: 682E2F21
	v_lshlrev_b32_e32 v23, 2, v23                              // 0000000046F0: 242E2E82
	v_lshrrev_b32_e32 v32, 4, v0                               // 0000000046F4: 20400084
	v_and_b32_e32 v33, 1, v32                                  // 0000000046F8: 26424081
	v_mul_i32_i24_e32 v21, 0x100, v33                          // 0000000046FC: 0C2A42FF 00000100
	v_and_b32_e32 v33, 2, v32                                  // 000000004704: 26424082
	v_mul_i32_i24_e32 v33, 64, v33                             // 000000004708: 0C4242C0
	v_add_u32_e32 v21, v33, v21                                // 00000000470C: 682A2B21
	v_and_b32_e32 v32, 15, v0                                  // 000000004710: 2640008F
	v_mul_i32_i24_e32 v33, 2, v32                              // 000000004714: 0C424082
	v_add_u32_e32 v21, v33, v21                                // 000000004718: 682A2B21
	s_mul_i32 s60, s46, 32                                     // 00000000471C: 923CA02E
	v_add_u32_e32 v21, s60, v21                                // 000000004720: 682A2A3C
	v_lshlrev_b32_e32 v21, 2, v21                              // 000000004724: 242A2A82
	v_lshlrev_b32_e32 v22, 1, v0                               // 000000004728: 242C0081
	s_mul_i32 s60, s46, 0x200                                  // 00000000472C: 923CFF2E 00000200
	v_add_u32_e32 v22, s60, v22                                // 000000004734: 682C2C3C
	v_lshlrev_b32_e32 v22, 2, v22                              // 000000004738: 242C2C82
	v_lshrrev_b32_e32 v32, 5, v0                               // 00000000473C: 20400085
	v_mul_i32_i24_e32 v19, 64, v32                             // 000000004740: 0C2640C0
	v_and_b32_e32 v32, 31, v0                                  // 000000004744: 2640009F
	v_and_b32_e32 v32, 3, v32                                  // 000000004748: 26404083
	v_and_b32_e32 v33, 1, v32                                  // 00000000474C: 26424081
	v_mul_i32_i24_e32 v33, 4, v33                              // 000000004750: 0C424284
	v_add_u32_e32 v19, v33, v19                                // 000000004754: 68262721
	v_and_b32_e32 v33, 2, v32                                  // 000000004758: 26424082
	v_mul_i32_i24_e32 v33, 0x44, v33                           // 00000000475C: 0C4242FF 00000044
	v_add_u32_e32 v19, v33, v19                                // 000000004764: 68262721
	v_and_b32_e32 v32, 31, v0                                  // 000000004768: 2640009F
	v_lshrrev_b32_e32 v32, 2, v32                              // 00000000476C: 20404082
	v_lshrrev_b32_e32 v34, 2, v32                              // 000000004770: 20444082
	v_mul_i32_i24_e32 v33, 16, v34                             // 000000004774: 0C424490
	v_add_u32_e32 v19, v33, v19                                // 000000004778: 68262721
	v_and_b32_e32 v33, 2, v32                                  // 00000000477C: 26424082
	v_lshlrev_b32_e32 v33, 4, v33                              // 000000004780: 24424284
	v_add_u32_e32 v19, v33, v19                                // 000000004784: 68262721
	v_and_b32_e32 v33, 1, v32                                  // 000000004788: 26424081
	v_xor_b32_e32 v33, v34, v33                                // 00000000478C: 2A424322
	v_mul_i32_i24_e32 v33, 8, v33                              // 000000004790: 0C424288
	v_add_u32_e32 v19, v33, v19                                // 000000004794: 68262721
	s_lshr_b32 s60, s46, 1                                     // 000000004798: 8F3C812E
	s_mul_i32 s60, s60, 0x6c0                                  // 00000000479C: 923CFF3C 000006C0
	v_add_u32_e32 v19, s60, v19                                // 0000000047A4: 6826263C
	v_lshlrev_b32_e32 v19, 2, v19                              // 0000000047A8: 24262682
	v_lshrrev_b32_e32 v32, 5, v0                               // 0000000047AC: 20400085
	v_mul_i32_i24_e32 v20, 32, v32                             // 0000000047B0: 0C2840A0
	v_and_b32_e32 v32, 31, v0                                  // 0000000047B4: 2640009F
	v_and_b32_e32 v32, 3, v32                                  // 0000000047B8: 26404083
	v_and_b32_e32 v33, 1, v32                                  // 0000000047BC: 26424081
	v_mul_i32_i24_e32 v33, 4, v33                              // 0000000047C0: 0C424284
	v_add_u32_e32 v20, v33, v20                                // 0000000047C4: 68282921
	v_and_b32_e32 v33, 2, v32                                  // 0000000047C8: 26424082
	v_lshrrev_b32_e32 v33, 1, v33                              // 0000000047CC: 20424281
	v_add_u32_e32 v20, v33, v20                                // 0000000047D0: 68282921
	v_and_b32_e32 v32, 31, v0                                  // 0000000047D4: 2640009F
	v_lshrrev_b32_e32 v32, 2, v32                              // 0000000047D8: 20404082
	v_and_b32_e32 v34, 1, v32                                  // 0000000047DC: 26444081
	v_mul_i32_i24_e32 v33, 16, v34                             // 0000000047E0: 0C424490
	v_add_u32_e32 v20, v33, v20                                // 0000000047E4: 68282921
	v_and_b32_e32 v33, 2, v32                                  // 0000000047E8: 26424082
	v_add_u32_e32 v20, v33, v20                                // 0000000047EC: 68282921
	v_lshrrev_b32_e32 v33, 2, v32                              // 0000000047F0: 20424082
	v_xor_b32_e32 v33, v34, v33                                // 0000000047F4: 2A424322
	v_mul_i32_i24_e32 v33, 8, v33                              // 0000000047F8: 0C424288
	v_add_u32_e32 v20, v33, v20                                // 0000000047FC: 68282921
	s_and_b32 s60, 1, s46                                      // 000000004800: 863C2E81
	s_mul_i32 s60, s60, 64                                     // 000000004804: 923CC03C
	s_lshr_b32 s61, s46, 1                                     // 000000004808: 8F3D812E
	s_mul_i32 s61, s61, 0x120                                  // 00000000480C: 923DFF3D 00000120
	s_add_u32 s60, s60, s61                                    // 000000004814: 803C3D3C
	v_add_u32_e32 v20, s60, v20                                // 000000004818: 6828283C
	v_lshlrev_b32_e32 v20, 2, v20                              // 00000000481C: 24282882
	buffer_load_dword v180, v1, s[12:15], 0 idxen              // 000000004820: E0502000 8003B401
	buffer_load_dword v181, v2, s[12:15], 0 idxen              // 000000004828: E0502000 8003B502
	s_mul_i32 s60, 4, s6                                       // 000000004830: 923C0684
	s_cmp_lt_i32 0, s72                                        // 000000004834: BF044880
	s_cselect_b32 s60, s60, 0                                  // 000000004838: 853C803C
	v_add_u32_e32 v1, s60, v1                                  // 00000000483C: 6802023C
	v_add_u32_e32 v2, s60, v2                                  // 000000004840: 6804043C
	buffer_load_dword v182, v1, s[12:15], 0 idxen              // 000000004844: E0502000 8003B601
	buffer_load_dword v183, v2, s[12:15], 0 idxen              // 00000000484C: E0502000 8003B702
	s_mul_i32 s60, 4, s6                                       // 000000004854: 923C0684
	s_cmp_lt_i32 0, s72                                        // 000000004858: BF044880
	s_cselect_b32 s60, s60, 0                                  // 00000000485C: 853C803C
	v_add_u32_e32 v1, s60, v1                                  // 000000004860: 6802023C
	v_add_u32_e32 v2, s60, v2                                  // 000000004864: 6804043C
	buffer_load_dword v184, v1, s[12:15], 0 idxen              // 000000004868: E0502000 8003B801
	buffer_load_dword v185, v2, s[12:15], 0 idxen              // 000000004870: E0502000 8003B902
	s_mul_i32 s60, 4, s6                                       // 000000004878: 923C0684
	s_cmp_lt_i32 0, s72                                        // 00000000487C: BF044880
	s_cselect_b32 s60, s60, 0                                  // 000000004880: 853C803C
	v_add_u32_e32 v1, s60, v1                                  // 000000004884: 6802023C
	v_add_u32_e32 v2, s60, v2                                  // 000000004888: 6804043C
	buffer_load_dword v186, v1, s[12:15], 0 idxen              // 00000000488C: E0502000 8003BA01
	buffer_load_dword v187, v2, s[12:15], 0 idxen              // 000000004894: E0502000 8003BB02
	s_mul_i32 s60, 4, s6                                       // 00000000489C: 923C0684
	s_cmp_lt_i32 1, s72                                        // 0000000048A0: BF044881
	s_cselect_b32 s60, s60, 0                                  // 0000000048A4: 853C803C
	v_add_u32_e32 v1, s60, v1                                  // 0000000048A8: 6802023C
	v_add_u32_e32 v2, s60, v2                                  // 0000000048AC: 6804043C
	buffer_load_dword v188, v1, s[12:15], 0 idxen              // 0000000048B0: E0502000 8003BC01
	buffer_load_dword v189, v2, s[12:15], 0 idxen              // 0000000048B8: E0502000 8003BD02
	s_mul_i32 s60, 4, s6                                       // 0000000048C0: 923C0684
	s_cmp_lt_i32 1, s72                                        // 0000000048C4: BF044881
	s_cselect_b32 s60, s60, 0                                  // 0000000048C8: 853C803C
	v_add_u32_e32 v1, s60, v1                                  // 0000000048CC: 6802023C
	v_add_u32_e32 v2, s60, v2                                  // 0000000048D0: 6804043C
	buffer_load_dword v190, v1, s[12:15], 0 idxen              // 0000000048D4: E0502000 8003BE01
	buffer_load_dword v191, v2, s[12:15], 0 idxen              // 0000000048DC: E0502000 8003BF02
	s_mul_i32 s60, 4, s6                                       // 0000000048E4: 923C0684
	s_cmp_lt_i32 1, s72                                        // 0000000048E8: BF044881
	s_cselect_b32 s60, s60, 0                                  // 0000000048EC: 853C803C
	v_add_u32_e32 v1, s60, v1                                  // 0000000048F0: 6802023C
	v_add_u32_e32 v2, s60, v2                                  // 0000000048F4: 6804043C
	buffer_load_dword v192, v1, s[12:15], 0 idxen              // 0000000048F8: E0502000 8003C001
	buffer_load_dword v193, v2, s[12:15], 0 idxen              // 000000004900: E0502000 8003C102
	s_mul_i32 s60, 4, s6                                       // 000000004908: 923C0684
	s_cmp_lt_i32 1, s72                                        // 00000000490C: BF044881
	s_cselect_b32 s60, s60, 0                                  // 000000004910: 853C803C
	v_add_u32_e32 v1, s60, v1                                  // 000000004914: 6802023C
	v_add_u32_e32 v2, s60, v2                                  // 000000004918: 6804043C
	buffer_load_dword v194, v1, s[12:15], 0 idxen              // 00000000491C: E0502000 8003C201
	buffer_load_dword v195, v2, s[12:15], 0 idxen              // 000000004924: E0502000 8003C302
	s_mul_i32 s60, 4, s6                                       // 00000000492C: 923C0684
	s_cmp_lt_i32 2, s72                                        // 000000004930: BF044882
	s_cselect_b32 s60, s60, 0                                  // 000000004934: 853C803C
	v_add_u32_e32 v1, s60, v1                                  // 000000004938: 6802023C
	v_add_u32_e32 v2, s60, v2                                  // 00000000493C: 6804043C
	buffer_load_dword v196, v1, s[12:15], 0 idxen              // 000000004940: E0502000 8003C401
	buffer_load_dword v197, v2, s[12:15], 0 idxen              // 000000004948: E0502000 8003C502
	s_mul_i32 s60, 4, s6                                       // 000000004950: 923C0684
	s_cmp_lt_i32 2, s72                                        // 000000004954: BF044882
	s_cselect_b32 s60, s60, 0                                  // 000000004958: 853C803C
	v_add_u32_e32 v1, s60, v1                                  // 00000000495C: 6802023C
	v_add_u32_e32 v2, s60, v2                                  // 000000004960: 6804043C
	buffer_load_dword v198, v1, s[12:15], 0 idxen              // 000000004964: E0502000 8003C601
	buffer_load_dword v199, v2, s[12:15], 0 idxen              // 00000000496C: E0502000 8003C702
	s_mul_i32 s60, 4, s6                                       // 000000004974: 923C0684
	s_cmp_lt_i32 2, s72                                        // 000000004978: BF044882
	s_cselect_b32 s60, s60, 0                                  // 00000000497C: 853C803C
	v_add_u32_e32 v1, s60, v1                                  // 000000004980: 6802023C
	v_add_u32_e32 v2, s60, v2                                  // 000000004984: 6804043C
	buffer_load_dword v200, v1, s[12:15], 0 idxen              // 000000004988: E0502000 8003C801
	buffer_load_dword v201, v2, s[12:15], 0 idxen              // 000000004990: E0502000 8003C902
	s_mul_i32 s60, 4, s6                                       // 000000004998: 923C0684
	s_cmp_lt_i32 2, s72                                        // 00000000499C: BF044882
	s_cselect_b32 s60, s60, 0                                  // 0000000049A0: 853C803C
	v_add_u32_e32 v1, s60, v1                                  // 0000000049A4: 6802023C
	v_add_u32_e32 v2, s60, v2                                  // 0000000049A8: 6804043C
	buffer_load_dword v202, v1, s[12:15], 0 idxen              // 0000000049AC: E0502000 8003CA01
	buffer_load_dword v203, v2, s[12:15], 0 idxen              // 0000000049B4: E0502000 8003CB02
	s_mul_i32 s60, 4, s6                                       // 0000000049BC: 923C0684
	s_cmp_lt_i32 3, s72                                        // 0000000049C0: BF044883
	s_cselect_b32 s60, s60, 0                                  // 0000000049C4: 853C803C
	v_add_u32_e32 v1, s60, v1                                  // 0000000049C8: 6802023C
	v_add_u32_e32 v2, s60, v2                                  // 0000000049CC: 6804043C
	s_waitcnt vmcnt(16) lgkmcnt(0)                             // 0000000049D0: BF8C4070
	s_barrier                                                  // 0000000049D4: BF8A0000
	s_cmp_lt_i32 0, s72                                        // 0000000049D8: BF044880
	s_cbranch_scc1 label_0300                                  // 0000000049DC: BF850008
	v_mov_b32_e32 v180, 0                                      // 0000000049E0: 7F680280
	v_mov_b32_e32 v181, 0                                      // 0000000049E4: 7F6A0280
	v_mov_b32_e32 v182, 0                                      // 0000000049E8: 7F6C0280
	v_mov_b32_e32 v183, 0                                      // 0000000049EC: 7F6E0280
	v_mov_b32_e32 v184, 0                                      // 0000000049F0: 7F700280
	v_mov_b32_e32 v185, 0                                      // 0000000049F4: 7F720280
	v_mov_b32_e32 v186, 0                                      // 0000000049F8: 7F740280
	v_mov_b32_e32 v187, 0                                      // 0000000049FC: 7F760280

0000000000004a00 <label_0300>:
	v_perm_b32 v204, v181, v180, s63                           // 000000004A00: D1ED00CC 00FF69B5
	v_perm_b32 v205, v181, v180, s64                           // 000000004A08: D1ED00CD 010369B5
	v_perm_b32 v206, v183, v182, s63                           // 000000004A10: D1ED00CE 00FF6DB7
	v_perm_b32 v207, v183, v182, s64                           // 000000004A18: D1ED00CF 01036DB7
	v_perm_b32 v208, v185, v184, s63                           // 000000004A20: D1ED00D0 00FF71B9
	v_perm_b32 v209, v185, v184, s64                           // 000000004A28: D1ED00D1 010371B9
	v_perm_b32 v210, v187, v186, s63                           // 000000004A30: D1ED00D2 00FF75BB
	v_perm_b32 v211, v187, v186, s64                           // 000000004A38: D1ED00D3 010375BB
	ds_write_b32 v15, v204 offset:8704                         // 000000004A40: D81A2200 0000CC0F
	ds_write_b32 v15, v205 offset:9760                         // 000000004A48: D81A2620 0000CD0F
	ds_write_b32 v15, v206 offset:10880                        // 000000004A50: D81A2A80 0000CE0F
	ds_write_b32 v15, v207 offset:11936                        // 000000004A58: D81A2EA0 0000CF0F
	ds_write_b32 v15, v208 offset:13056                        // 000000004A60: D81A3300 0000D00F
	ds_write_b32 v15, v209 offset:14112                        // 000000004A68: D81A3720 0000D10F
	ds_write_b32 v15, v210 offset:15232                        // 000000004A70: D81A3B80 0000D20F
	ds_write_b32 v15, v211 offset:16288                        // 000000004A78: D81A3FA0 0000D30F
	ds_write_b32 v13, v180                                     // 000000004A80: D81A0000 0000B40D
	ds_write_b32 v13, v181 offset:1056                         // 000000004A88: D81A0420 0000B50D
	ds_write_b32 v13, v182 offset:2176                         // 000000004A90: D81A0880 0000B60D
	ds_write_b32 v13, v183 offset:3232                         // 000000004A98: D81A0CA0 0000B70D
	ds_write_b32 v13, v184 offset:4352                         // 000000004AA0: D81A1100 0000B80D
	ds_write_b32 v13, v185 offset:5408                         // 000000004AA8: D81A1520 0000B90D
	ds_write_b32 v13, v186 offset:6528                         // 000000004AB0: D81A1980 0000BA0D
	ds_write_b32 v13, v187 offset:7584                         // 000000004AB8: D81A1DA0 0000BB0D
	buffer_load_dword v180, v228, s[16:19], 0 idxen            // 000000004AC0: E0502000 8004B4E4
	buffer_load_dword v181, v229, s[16:19], 0 idxen            // 000000004AC8: E0502000 8004B5E5
	s_mul_i32 s60, 4, s7                                       // 000000004AD0: 923C0784
	s_cmp_lt_i32 0, s72                                        // 000000004AD4: BF044880
	s_cselect_b32 s60, s60, 0                                  // 000000004AD8: 853C803C
	v_add_u32_e32 v228, s60, v228                              // 000000004ADC: 69C9C83C
	v_add_u32_e32 v229, s60, v229                              // 000000004AE0: 69CBCA3C
	buffer_load_dword v182, v228, s[16:19], 0 idxen            // 000000004AE4: E0502000 8004B6E4
	buffer_load_dword v183, v229, s[16:19], 0 idxen            // 000000004AEC: E0502000 8004B7E5
	s_mul_i32 s60, 4, s7                                       // 000000004AF4: 923C0784
	s_cmp_lt_i32 0, s72                                        // 000000004AF8: BF044880
	s_cselect_b32 s60, s60, 0                                  // 000000004AFC: 853C803C
	v_add_u32_e32 v228, s60, v228                              // 000000004B00: 69C9C83C
	v_add_u32_e32 v229, s60, v229                              // 000000004B04: 69CBCA3C
	buffer_load_dword v184, v228, s[16:19], 0 idxen            // 000000004B08: E0502000 8004B8E4
	buffer_load_dword v185, v229, s[16:19], 0 idxen            // 000000004B10: E0502000 8004B9E5
	s_mul_i32 s60, 4, s7                                       // 000000004B18: 923C0784
	s_cmp_lt_i32 0, s72                                        // 000000004B1C: BF044880
	s_cselect_b32 s60, s60, 0                                  // 000000004B20: 853C803C
	v_add_u32_e32 v228, s60, v228                              // 000000004B24: 69C9C83C
	v_add_u32_e32 v229, s60, v229                              // 000000004B28: 69CBCA3C
	buffer_load_dword v186, v228, s[16:19], 0 idxen            // 000000004B2C: E0502000 8004BAE4
	buffer_load_dword v187, v229, s[16:19], 0 idxen            // 000000004B34: E0502000 8004BBE5
	s_mul_i32 s60, 4, s7                                       // 000000004B3C: 923C0784
	s_cmp_lt_i32 1, s72                                        // 000000004B40: BF044881
	s_cselect_b32 s60, s60, 0                                  // 000000004B44: 853C803C
	v_add_u32_e32 v228, s60, v228                              // 000000004B48: 69C9C83C
	v_add_u32_e32 v229, s60, v229                              // 000000004B4C: 69CBCA3C
	s_waitcnt lgkmcnt(0)                                       // 000000004B50: BF8CC07F
	s_barrier                                                  // 000000004B54: BF8A0000
	ds_read_b128 a[24:27], v25 offset:8704                     // 000000004B58: DBFE2200 18000019
	ds_read_b128 a[28:31], v25 offset:8960                     // 000000004B60: DBFE2300 1C000019
	ds_read_b128 a[32:35], v25 offset:13056                    // 000000004B68: DBFE3300 20000019
	ds_read_b128 a[36:39], v25 offset:13312                    // 000000004B70: DBFE3400 24000019
	ds_read_b128 a[0:3], v24                                   // 000000004B78: DBFE0000 00000018
	ds_read_b128 a[4:7], v24 offset:512                        // 000000004B80: DBFE0200 04000018
	s_waitcnt vmcnt(16) lgkmcnt(0)                             // 000000004B88: BF8C4070
	s_barrier                                                  // 000000004B8C: BF8A0000
	s_cmp_lt_i32 1, s72                                        // 000000004B90: BF044881
	s_cbranch_scc1 label_036E                                  // 000000004B94: BF850008
	v_mov_b32_e32 v188, 0                                      // 000000004B98: 7F780280
	v_mov_b32_e32 v189, 0                                      // 000000004B9C: 7F7A0280
	v_mov_b32_e32 v190, 0                                      // 000000004BA0: 7F7C0280
	v_mov_b32_e32 v191, 0                                      // 000000004BA4: 7F7E0280
	v_mov_b32_e32 v192, 0                                      // 000000004BA8: 7F800280
	v_mov_b32_e32 v193, 0                                      // 000000004BAC: 7F820280
	v_mov_b32_e32 v194, 0                                      // 000000004BB0: 7F840280
	v_mov_b32_e32 v195, 0                                      // 000000004BB4: 7F860280

0000000000004bb8 <label_036E>:
	v_perm_b32 v204, v189, v188, s63                           // 000000004BB8: D1ED00CC 00FF79BD
	v_perm_b32 v205, v189, v188, s64                           // 000000004BC0: D1ED00CD 010379BD
	v_perm_b32 v206, v191, v190, s63                           // 000000004BC8: D1ED00CE 00FF7DBF
	v_perm_b32 v207, v191, v190, s64                           // 000000004BD0: D1ED00CF 01037DBF
	v_perm_b32 v208, v193, v192, s63                           // 000000004BD8: D1ED00D0 00FF81C1
	v_perm_b32 v209, v193, v192, s64                           // 000000004BE0: D1ED00D1 010381C1
	v_perm_b32 v210, v195, v194, s63                           // 000000004BE8: D1ED00D2 00FF85C3
	v_perm_b32 v211, v195, v194, s64                           // 000000004BF0: D1ED00D3 010385C3
	ds_write_b32 v15, v204 offset:8704                         // 000000004BF8: D81A2200 0000CC0F
	ds_write_b32 v15, v205 offset:9760                         // 000000004C00: D81A2620 0000CD0F
	ds_write_b32 v15, v206 offset:10880                        // 000000004C08: D81A2A80 0000CE0F
	ds_write_b32 v15, v207 offset:11936                        // 000000004C10: D81A2EA0 0000CF0F
	ds_write_b32 v15, v208 offset:13056                        // 000000004C18: D81A3300 0000D00F
	ds_write_b32 v15, v209 offset:14112                        // 000000004C20: D81A3720 0000D10F
	ds_write_b32 v15, v210 offset:15232                        // 000000004C28: D81A3B80 0000D20F
	ds_write_b32 v15, v211 offset:16288                        // 000000004C30: D81A3FA0 0000D30F
	ds_write_b32 v13, v188                                     // 000000004C38: D81A0000 0000BC0D
	ds_write_b32 v13, v189 offset:1056                         // 000000004C40: D81A0420 0000BD0D
	ds_write_b32 v13, v190 offset:2176                         // 000000004C48: D81A0880 0000BE0D
	ds_write_b32 v13, v191 offset:3232                         // 000000004C50: D81A0CA0 0000BF0D
	ds_write_b32 v13, v192 offset:4352                         // 000000004C58: D81A1100 0000C00D
	ds_write_b32 v13, v193 offset:5408                         // 000000004C60: D81A1520 0000C10D
	ds_write_b32 v13, v194 offset:6528                         // 000000004C68: D81A1980 0000C20D
	ds_write_b32 v13, v195 offset:7584                         // 000000004C70: D81A1DA0 0000C30D
	buffer_load_dword v188, v228, s[16:19], 0 idxen            // 000000004C78: E0502000 8004BCE4
	buffer_load_dword v189, v229, s[16:19], 0 idxen            // 000000004C80: E0502000 8004BDE5
	s_mul_i32 s60, 4, s7                                       // 000000004C88: 923C0784
	s_cmp_lt_i32 1, s72                                        // 000000004C8C: BF044881
	s_cselect_b32 s60, s60, 0                                  // 000000004C90: 853C803C
	v_add_u32_e32 v228, s60, v228                              // 000000004C94: 69C9C83C
	v_add_u32_e32 v229, s60, v229                              // 000000004C98: 69CBCA3C
	buffer_load_dword v190, v228, s[16:19], 0 idxen            // 000000004C9C: E0502000 8004BEE4
	buffer_load_dword v191, v229, s[16:19], 0 idxen            // 000000004CA4: E0502000 8004BFE5
	s_mul_i32 s60, 4, s7                                       // 000000004CAC: 923C0784
	s_cmp_lt_i32 1, s72                                        // 000000004CB0: BF044881
	s_cselect_b32 s60, s60, 0                                  // 000000004CB4: 853C803C
	v_add_u32_e32 v228, s60, v228                              // 000000004CB8: 69C9C83C
	v_add_u32_e32 v229, s60, v229                              // 000000004CBC: 69CBCA3C
	buffer_load_dword v192, v228, s[16:19], 0 idxen            // 000000004CC0: E0502000 8004C0E4
	buffer_load_dword v193, v229, s[16:19], 0 idxen            // 000000004CC8: E0502000 8004C1E5
	s_mul_i32 s60, 4, s7                                       // 000000004CD0: 923C0784
	s_cmp_lt_i32 1, s72                                        // 000000004CD4: BF044881
	s_cselect_b32 s60, s60, 0                                  // 000000004CD8: 853C803C
	v_add_u32_e32 v228, s60, v228                              // 000000004CDC: 69C9C83C
	v_add_u32_e32 v229, s60, v229                              // 000000004CE0: 69CBCA3C
	buffer_load_dword v194, v228, s[16:19], 0 idxen            // 000000004CE4: E0502000 8004C2E4
	buffer_load_dword v195, v229, s[16:19], 0 idxen            // 000000004CEC: E0502000 8004C3E5
	s_mul_i32 s60, 4, s7                                       // 000000004CF4: 923C0784
	s_cmp_lt_i32 2, s72                                        // 000000004CF8: BF044882
	s_cselect_b32 s60, s60, 0                                  // 000000004CFC: 853C803C
	v_add_u32_e32 v228, s60, v228                              // 000000004D00: 69C9C83C
	v_add_u32_e32 v229, s60, v229                              // 000000004D04: 69CBCA3C
	s_waitcnt lgkmcnt(0)                                       // 000000004D08: BF8CC07F
	s_barrier                                                  // 000000004D0C: BF8A0000
	ds_read_b128 a[40:43], v25 offset:8704                     // 000000004D10: DBFE2200 28000019
	ds_read_b128 a[44:47], v25 offset:8960                     // 000000004D18: DBFE2300 2C000019
	ds_read_b128 a[48:51], v25 offset:13056                    // 000000004D20: DBFE3300 30000019
	ds_read_b128 a[52:55], v25 offset:13312                    // 000000004D28: DBFE3400 34000019
	ds_read_b128 a[8:11], v24                                  // 000000004D30: DBFE0000 08000018
	ds_read_b128 a[12:15], v24 offset:512                      // 000000004D38: DBFE0200 0C000018
	s_waitcnt vmcnt(16) lgkmcnt(0)                             // 000000004D40: BF8C4070
	s_barrier                                                  // 000000004D44: BF8A0000
	s_cmp_lt_i32 2, s72                                        // 000000004D48: BF044882
	s_cbranch_scc1 label_03DC                                  // 000000004D4C: BF850008
	v_mov_b32_e32 v196, 0                                      // 000000004D50: 7F880280
	v_mov_b32_e32 v197, 0                                      // 000000004D54: 7F8A0280
	v_mov_b32_e32 v198, 0                                      // 000000004D58: 7F8C0280
	v_mov_b32_e32 v199, 0                                      // 000000004D5C: 7F8E0280
	v_mov_b32_e32 v200, 0                                      // 000000004D60: 7F900280
	v_mov_b32_e32 v201, 0                                      // 000000004D64: 7F920280
	v_mov_b32_e32 v202, 0                                      // 000000004D68: 7F940280
	v_mov_b32_e32 v203, 0                                      // 000000004D6C: 7F960280

0000000000004d70 <label_03DC>:
	v_perm_b32 v204, v197, v196, s63                           // 000000004D70: D1ED00CC 00FF89C5
	v_perm_b32 v205, v197, v196, s64                           // 000000004D78: D1ED00CD 010389C5
	v_perm_b32 v206, v199, v198, s63                           // 000000004D80: D1ED00CE 00FF8DC7
	v_perm_b32 v207, v199, v198, s64                           // 000000004D88: D1ED00CF 01038DC7
	v_perm_b32 v208, v201, v200, s63                           // 000000004D90: D1ED00D0 00FF91C9
	v_perm_b32 v209, v201, v200, s64                           // 000000004D98: D1ED00D1 010391C9
	v_perm_b32 v210, v203, v202, s63                           // 000000004DA0: D1ED00D2 00FF95CB
	v_perm_b32 v211, v203, v202, s64                           // 000000004DA8: D1ED00D3 010395CB
	ds_write_b32 v15, v204 offset:8704                         // 000000004DB0: D81A2200 0000CC0F
	ds_write_b32 v15, v205 offset:9760                         // 000000004DB8: D81A2620 0000CD0F
	ds_write_b32 v15, v206 offset:10880                        // 000000004DC0: D81A2A80 0000CE0F
	ds_write_b32 v15, v207 offset:11936                        // 000000004DC8: D81A2EA0 0000CF0F
	ds_write_b32 v15, v208 offset:13056                        // 000000004DD0: D81A3300 0000D00F
	ds_write_b32 v15, v209 offset:14112                        // 000000004DD8: D81A3720 0000D10F
	ds_write_b32 v15, v210 offset:15232                        // 000000004DE0: D81A3B80 0000D20F
	ds_write_b32 v15, v211 offset:16288                        // 000000004DE8: D81A3FA0 0000D30F
	ds_write_b32 v13, v196                                     // 000000004DF0: D81A0000 0000C40D
	ds_write_b32 v13, v197 offset:1056                         // 000000004DF8: D81A0420 0000C50D
	ds_write_b32 v13, v198 offset:2176                         // 000000004E00: D81A0880 0000C60D
	ds_write_b32 v13, v199 offset:3232                         // 000000004E08: D81A0CA0 0000C70D
	ds_write_b32 v13, v200 offset:4352                         // 000000004E10: D81A1100 0000C80D
	ds_write_b32 v13, v201 offset:5408                         // 000000004E18: D81A1520 0000C90D
	ds_write_b32 v13, v202 offset:6528                         // 000000004E20: D81A1980 0000CA0D
	ds_write_b32 v13, v203 offset:7584                         // 000000004E28: D81A1DA0 0000CB0D
	buffer_load_dword v196, v228, s[16:19], 0 idxen            // 000000004E30: E0502000 8004C4E4
	buffer_load_dword v197, v229, s[16:19], 0 idxen            // 000000004E38: E0502000 8004C5E5
	s_mul_i32 s60, 4, s7                                       // 000000004E40: 923C0784
	s_cmp_lt_i32 2, s72                                        // 000000004E44: BF044882
	s_cselect_b32 s60, s60, 0                                  // 000000004E48: 853C803C
	v_add_u32_e32 v228, s60, v228                              // 000000004E4C: 69C9C83C
	v_add_u32_e32 v229, s60, v229                              // 000000004E50: 69CBCA3C
	buffer_load_dword v198, v228, s[16:19], 0 idxen            // 000000004E54: E0502000 8004C6E4
	buffer_load_dword v199, v229, s[16:19], 0 idxen            // 000000004E5C: E0502000 8004C7E5
	s_mul_i32 s60, 4, s7                                       // 000000004E64: 923C0784
	s_cmp_lt_i32 2, s72                                        // 000000004E68: BF044882
	s_cselect_b32 s60, s60, 0                                  // 000000004E6C: 853C803C
	v_add_u32_e32 v228, s60, v228                              // 000000004E70: 69C9C83C
	v_add_u32_e32 v229, s60, v229                              // 000000004E74: 69CBCA3C
	buffer_load_dword v200, v228, s[16:19], 0 idxen            // 000000004E78: E0502000 8004C8E4
	buffer_load_dword v201, v229, s[16:19], 0 idxen            // 000000004E80: E0502000 8004C9E5
	s_mul_i32 s60, 4, s7                                       // 000000004E88: 923C0784
	s_cmp_lt_i32 2, s72                                        // 000000004E8C: BF044882
	s_cselect_b32 s60, s60, 0                                  // 000000004E90: 853C803C
	v_add_u32_e32 v228, s60, v228                              // 000000004E94: 69C9C83C
	v_add_u32_e32 v229, s60, v229                              // 000000004E98: 69CBCA3C
	buffer_load_dword v202, v228, s[16:19], 0 idxen            // 000000004E9C: E0502000 8004CAE4
	buffer_load_dword v203, v229, s[16:19], 0 idxen            // 000000004EA4: E0502000 8004CBE5
	s_mul_i32 s60, 4, s7                                       // 000000004EAC: 923C0784
	s_cmp_lt_i32 3, s72                                        // 000000004EB0: BF044883
	s_cselect_b32 s60, s60, 0                                  // 000000004EB4: 853C803C
	v_add_u32_e32 v228, s60, v228                              // 000000004EB8: 69C9C83C
	v_add_u32_e32 v229, s60, v229                              // 000000004EBC: 69CBCA3C
	s_waitcnt lgkmcnt(0)                                       // 000000004EC0: BF8CC07F
	s_barrier                                                  // 000000004EC4: BF8A0000
	ds_read_b128 a[56:59], v25 offset:8704                     // 000000004EC8: DBFE2200 38000019
	ds_read_b128 a[60:63], v25 offset:8960                     // 000000004ED0: DBFE2300 3C000019
	ds_read_b128 a[64:67], v25 offset:13056                    // 000000004ED8: DBFE3300 40000019
	ds_read_b128 a[68:71], v25 offset:13312                    // 000000004EE0: DBFE3400 44000019
	ds_read_b128 a[16:19], v24                                 // 000000004EE8: DBFE0000 10000018
	ds_read_b128 a[20:23], v24 offset:512                      // 000000004EF0: DBFE0200 14000018
	s_waitcnt vmcnt(16) lgkmcnt(0)                             // 000000004EF8: BF8C4070
	s_barrier                                                  // 000000004EFC: BF8A0000
	s_cmp_lt_i32 0, s72                                        // 000000004F00: BF044880
	s_cbranch_scc1 label_044A                                  // 000000004F04: BF850008
	v_mov_b32_e32 v180, 0                                      // 000000004F08: 7F680280
	v_mov_b32_e32 v181, 0                                      // 000000004F0C: 7F6A0280
	v_mov_b32_e32 v182, 0                                      // 000000004F10: 7F6C0280
	v_mov_b32_e32 v183, 0                                      // 000000004F14: 7F6E0280
	v_mov_b32_e32 v184, 0                                      // 000000004F18: 7F700280
	v_mov_b32_e32 v185, 0                                      // 000000004F1C: 7F720280
	v_mov_b32_e32 v186, 0                                      // 000000004F20: 7F740280
	v_mov_b32_e32 v187, 0                                      // 000000004F24: 7F760280

0000000000004f28 <label_044A>:
	ds_write_b32 v13, v180                                     // 000000004F28: D81A0000 0000B40D
	ds_write_b32 v13, v181 offset:1056                         // 000000004F30: D81A0420 0000B50D
	ds_write_b32 v13, v182 offset:2176                         // 000000004F38: D81A0880 0000B60D
	ds_write_b32 v13, v183 offset:3232                         // 000000004F40: D81A0CA0 0000B70D
	ds_write_b32 v13, v184 offset:4352                         // 000000004F48: D81A1100 0000B80D
	ds_write_b32 v13, v185 offset:5408                         // 000000004F50: D81A1520 0000B90D
	ds_write_b32 v13, v186 offset:6528                         // 000000004F58: D81A1980 0000BA0D
	ds_write_b32 v13, v187 offset:7584                         // 000000004F60: D81A1DA0 0000BB0D
	s_mov_b32 s71, s5                                          // 000000004F68: BEC70005
	v_lshrrev_b32_e32 v32, 4, v0                               // 000000004F6C: 20400084
	v_and_b32_e32 v33, 1, v32                                  // 000000004F70: 26424081
	v_lshlrev_b32_e32 v33, 1, v33                              // 000000004F74: 24424281
	v_mul_i32_i24_e32 v33, s71, v33                            // 000000004F78: 0C424247
	v_and_b32_e32 v34, 2, v32                                  // 000000004F7C: 26444082
	v_lshlrev_b32_e32 v34, 5, v34                              // 000000004F80: 24444485
	v_add_u32_e32 v33, v34, v33                                // 000000004F84: 68424322
	v_and_b32_e32 v32, 15, v0                                  // 000000004F88: 2640008F
	v_lshlrev_b32_e32 v32, 2, v32                              // 000000004F8C: 24404082
	v_add_u32_e32 v1, v32, v33                                 // 000000004F90: 68024320
	s_mul_i32 s60, s46, s71                                    // 000000004F94: 923C472E
	s_mul_i32 s60, s60, 4                                      // 000000004F98: 923C843C
	v_add_u32_e32 v1, s60, v1                                  // 000000004F9C: 6802023C
	v_add_u32_e32 v2, s71, v1                                  // 000000004FA0: 68040247
	s_mul_i32 s60, 16, s71                                     // 000000004FA4: 923C4790
	v_add_u32_e32 v3, s60, v1                                  // 000000004FA8: 6806023C
	v_add_u32_e32 v4, s60, v2                                  // 000000004FAC: 6808043C
	s_mov_b32 s71, s51                                         // 000000004FB0: BEC70033
	v_lshrrev_b32_e32 v32, 4, v0                               // 000000004FB4: 20400084
	v_and_b32_e32 v33, 1, v32                                  // 000000004FB8: 26424081
	v_lshlrev_b32_e32 v33, 1, v33                              // 000000004FBC: 24424281
	v_mul_i32_i24_e32 v33, s71, v33                            // 000000004FC0: 0C424247
	v_and_b32_e32 v34, 2, v32                                  // 000000004FC4: 26444082
	v_lshlrev_b32_e32 v34, 5, v34                              // 000000004FC8: 24444485
	v_add_u32_e32 v33, v34, v33                                // 000000004FCC: 68424322
	v_and_b32_e32 v32, 15, v0                                  // 000000004FD0: 2640008F
	v_lshlrev_b32_e32 v32, 2, v32                              // 000000004FD4: 24404082
	v_add_u32_e32 v228, v32, v33                               // 000000004FD8: 69C84320
	s_mul_i32 s60, s46, s71                                    // 000000004FDC: 923C472E
	s_mul_i32 s60, s60, 4                                      // 000000004FE0: 923C843C
	v_add_u32_e32 v228, s60, v228                              // 000000004FE4: 69C9C83C
	v_add_u32_e32 v229, s71, v228                              // 000000004FE8: 69CBC847
	s_mul_i32 s60, 16, s71                                     // 000000004FEC: 923C4790
	v_add_u32_e32 v230, s60, v228                              // 000000004FF0: 69CDC83C
	v_add_u32_e32 v231, s60, v229                              // 000000004FF4: 69CFCA3C
	v_lshrrev_b32_e32 v1, 2, v1                                // 000000004FF8: 20020282
	v_lshrrev_b32_e32 v2, 2, v2                                // 000000004FFC: 20040482
	v_lshrrev_b32_e32 v3, 2, v3                                // 000000005000: 20060682
	v_lshrrev_b32_e32 v4, 2, v4                                // 000000005004: 20080882
	v_lshrrev_b32_e32 v228, 2, v228                            // 000000005008: 21C9C882
	v_lshrrev_b32_e32 v229, 2, v229                            // 00000000500C: 21CBCA82
	v_lshrrev_b32_e32 v230, 2, v230                            // 000000005010: 21CDCC82
	v_lshrrev_b32_e32 v231, 2, v231                            // 000000005014: 21CFCE82
	buffer_load_dword v36, v1, s[8:11], 0 idxen                // 000000005018: E0502000 80022401
	buffer_load_dword v37, v2, s[8:11], 0 idxen                // 000000005020: E0502000 80022502
	;; [unrolled: 1-line block ×4, first 2 shown]
	buffer_load_dword v44, v228, s[20:23], 0 idxen             // 000000005038: E0502000 80052CE4
	buffer_load_dword v45, v229, s[20:23], 0 idxen             // 000000005040: E0502000 80052DE5
	buffer_load_dword v46, v230, s[20:23], 0 idxen             // 000000005048: E0502000 80052EE6
	buffer_load_dword v47, v231, s[20:23], 0 idxen             // 000000005050: E0502000 80052FE7
	s_waitcnt lgkmcnt(0)                                       // 000000005058: BF8CC07F
	s_barrier                                                  // 00000000505C: BF8A0000
	ds_read_b128 a[72:75], v24                                 // 000000005060: DBFE0000 48000018
	ds_read_b128 a[76:79], v24 offset:512                      // 000000005068: DBFE0200 4C000018
	v_add_u32_e32 v1, s68, v1                                  // 000000005070: 68020244
	v_add_u32_e32 v2, s68, v2                                  // 000000005074: 68040444
	;; [unrolled: 1-line block ×3, first 2 shown]
	v_add_u32_e32 v4, s68, v4                                  // 00000000507C: 68080844
	v_add_u32_e32 v228, s99, v228                              // 000000005080: 69C9C863
	v_add_u32_e32 v229, s99, v229                              // 000000005084: 69CBCA63
	v_add_u32_e32 v230, s99, v230                              // 000000005088: 69CDCC63
	v_add_u32_e32 v231, s99, v231                              // 00000000508C: 69CFCE63
	s_waitcnt vmcnt(16) lgkmcnt(0)                             // 000000005090: BF8C4070
	s_barrier                                                  // 000000005094: BF8A0000
	s_cmp_lt_i32 1, s72                                        // 000000005098: BF044881
	s_cbranch_scc1 label_04B0                                  // 00000000509C: BF850008
	v_mov_b32_e32 v188, 0                                      // 0000000050A0: 7F780280
	v_mov_b32_e32 v189, 0                                      // 0000000050A4: 7F7A0280
	v_mov_b32_e32 v190, 0                                      // 0000000050A8: 7F7C0280
	v_mov_b32_e32 v191, 0                                      // 0000000050AC: 7F7E0280
	v_mov_b32_e32 v192, 0                                      // 0000000050B0: 7F800280
	v_mov_b32_e32 v193, 0                                      // 0000000050B4: 7F820280
	v_mov_b32_e32 v194, 0                                      // 0000000050B8: 7F840280
	v_mov_b32_e32 v195, 0                                      // 0000000050BC: 7F860280

00000000000050c0 <label_04B0>:
	ds_write_b32 v13, v188                                     // 0000000050C0: D81A0000 0000BC0D
	ds_write_b32 v13, v189 offset:1056                         // 0000000050C8: D81A0420 0000BD0D
	ds_write_b32 v13, v190 offset:2176                         // 0000000050D0: D81A0880 0000BE0D
	ds_write_b32 v13, v191 offset:3232                         // 0000000050D8: D81A0CA0 0000BF0D
	ds_write_b32 v13, v192 offset:4352                         // 0000000050E0: D81A1100 0000C00D
	ds_write_b32 v13, v193 offset:5408                         // 0000000050E8: D81A1520 0000C10D
	ds_write_b32 v13, v194 offset:6528                         // 0000000050F0: D81A1980 0000C20D
	ds_write_b32 v13, v195 offset:7584                         // 0000000050F8: D81A1DA0 0000C30D
	buffer_load_dword v40, v1, s[8:11], 0 idxen                // 000000005100: E0502000 80022801
	buffer_load_dword v41, v2, s[8:11], 0 idxen                // 000000005108: E0502000 80022902
	buffer_load_dword v42, v3, s[8:11], 0 idxen                // 000000005110: E0502000 80022A03
	buffer_load_dword v43, v4, s[8:11], 0 idxen                // 000000005118: E0502000 80022B04
	buffer_load_dword v48, v228, s[20:23], 0 idxen             // 000000005120: E0502000 800530E4
	buffer_load_dword v49, v229, s[20:23], 0 idxen             // 000000005128: E0502000 800531E5
	buffer_load_dword v50, v230, s[20:23], 0 idxen             // 000000005130: E0502000 800532E6
	buffer_load_dword v51, v231, s[20:23], 0 idxen             // 000000005138: E0502000 800533E7
	s_waitcnt lgkmcnt(0)                                       // 000000005140: BF8CC07F
	s_barrier                                                  // 000000005144: BF8A0000
	ds_read_b128 a[80:83], v24                                 // 000000005148: DBFE0000 50000018
	ds_read_b128 a[84:87], v24 offset:512                      // 000000005150: DBFE0200 54000018
	s_add_u32 s60, 64, s59                                     // 000000005158: 803C3BC0
	s_cmp_lt_u32 s60, s58                                      // 00000000515C: BF0A3A3C
	s_cselect_b32 s68, s68, 0                                  // 000000005160: 85448044
	s_cselect_b32 s99, s99, 0                                  // 000000005164: 85638063
	v_add_u32_e32 v1, s68, v1                                  // 000000005168: 68020244
	v_add_u32_e32 v2, s68, v2                                  // 00000000516C: 68040444
	v_add_u32_e32 v3, s68, v3                                  // 000000005170: 68060644
	v_add_u32_e32 v4, s68, v4                                  // 000000005174: 68080844
	v_add_u32_e32 v228, s99, v228                              // 000000005178: 69C9C863
	v_add_u32_e32 v229, s99, v229                              // 00000000517C: 69CBCA63
	v_add_u32_e32 v230, s99, v230                              // 000000005180: 69CDCC63
	v_add_u32_e32 v231, s99, v231                              // 000000005184: 69CFCE63
	s_waitcnt vmcnt(16) lgkmcnt(0)                             // 000000005188: BF8C4070
	s_barrier                                                  // 00000000518C: BF8A0000
	s_cmp_lt_i32 2, s72                                        // 000000005190: BF044882
	s_cbranch_scc1 label_04EE                                  // 000000005194: BF850008
	v_mov_b32_e32 v196, 0                                      // 000000005198: 7F880280
	v_mov_b32_e32 v197, 0                                      // 00000000519C: 7F8A0280
	v_mov_b32_e32 v198, 0                                      // 0000000051A0: 7F8C0280
	v_mov_b32_e32 v199, 0                                      // 0000000051A4: 7F8E0280
	v_mov_b32_e32 v200, 0                                      // 0000000051A8: 7F900280
	v_mov_b32_e32 v201, 0                                      // 0000000051AC: 7F920280
	v_mov_b32_e32 v202, 0                                      // 0000000051B0: 7F940280
	v_mov_b32_e32 v203, 0                                      // 0000000051B4: 7F960280

00000000000051b8 <label_04EE>:
	ds_write_b32 v13, v196                                     // 0000000051B8: D81A0000 0000C40D
	ds_write_b32 v13, v197 offset:1056                         // 0000000051C0: D81A0420 0000C50D
	ds_write_b32 v13, v198 offset:2176                         // 0000000051C8: D81A0880 0000C60D
	ds_write_b32 v13, v199 offset:3232                         // 0000000051D0: D81A0CA0 0000C70D
	ds_write_b32 v13, v200 offset:4352                         // 0000000051D8: D81A1100 0000C80D
	ds_write_b32 v13, v201 offset:5408                         // 0000000051E0: D81A1520 0000C90D
	ds_write_b32 v13, v202 offset:6528                         // 0000000051E8: D81A1980 0000CA0D
	ds_write_b32 v13, v203 offset:7584                         // 0000000051F0: D81A1DA0 0000CB0D
	s_waitcnt lgkmcnt(0)                                       // 0000000051F8: BF8CC07F
	s_barrier                                                  // 0000000051FC: BF8A0000
	ds_read_b128 a[88:91], v24                                 // 000000005200: DBFE0000 58000018
	ds_read_b128 a[92:95], v24 offset:512                      // 000000005208: DBFE0200 5C000018
	s_waitcnt vmcnt(8) lgkmcnt(0)                              // 000000005210: BF8C0078
	s_barrier                                                  // 000000005214: BF8A0000
	buffer_load_dword v11, s[24:27], 0 idxen lds               // 000000005218: E0512000 8006000B
	s_mov_b32 m0, s79                                          // 000000005220: BEFC004F
	v_add_u32_e32 v11, s69, v11                                // 000000005224: 68161645
	v_perm_b32 v100, v37, v36, s63                             // 000000005228: D1ED0064 00FE4925
	v_perm_b32 v101, v37, v36, s64                             // 000000005230: D1ED0065 01024925
	v_perm_b32 v102, v39, v38, s63                             // 000000005238: D1ED0066 00FE4D27
	v_perm_b32 v103, v39, v38, s64                             // 000000005240: D1ED0067 01024D27
	ds_write_b32 v15, v100 offset:4352                         // 000000005248: D81A1100 0000640F
	ds_write_b32 v15, v101 offset:5408                         // 000000005250: D81A1520 0000650F
	ds_write_b32 v15, v102 offset:6528                         // 000000005258: D81A1980 0000660F
	ds_write_b32 v15, v103 offset:7584                         // 000000005260: D81A1DA0 0000670F
	ds_write_b32 v13, v36                                      // 000000005268: D81A0000 0000240D
	ds_write_b32 v13, v37 offset:1056                          // 000000005270: D81A0420 0000250D
	ds_write_b32 v13, v38 offset:2176                          // 000000005278: D81A0880 0000260D
	ds_write_b32 v13, v39 offset:3232                          // 000000005280: D81A0CA0 0000270D
	buffer_load_dword v11, s[24:27], 0 idxen lds               // 000000005288: E0512000 8006000B
	s_add_u32 s60, 64, s59                                     // 000000005290: 803C3BC0
	s_cmp_lt_u32 s60, s58                                      // 000000005294: BF0A3A3C
	s_cselect_b32 s69, s69, 0                                  // 000000005298: 85458045
	s_mov_b32 m0, s78                                          // 00000000529C: BEFC004E
	v_add_u32_e32 v11, s69, v11                                // 0000000052A0: 68161645
	v_perm_b32 v104, v45, v44, s63                             // 0000000052A4: D1ED0068 00FE592D
	v_perm_b32 v105, v45, v44, s64                             // 0000000052AC: D1ED0069 0102592D
	v_perm_b32 v106, v47, v46, s63                             // 0000000052B4: D1ED006A 00FE5D2F
	v_perm_b32 v107, v47, v46, s64                             // 0000000052BC: D1ED006B 01025D2F
	ds_write_b32 v15, v104 offset:13056                        // 0000000052C4: D81A3300 0000680F
	ds_write_b32 v15, v105 offset:14112                        // 0000000052CC: D81A3720 0000690F
	ds_write_b32 v15, v106 offset:15232                        // 0000000052D4: D81A3B80 00006A0F
	ds_write_b32 v15, v107 offset:16288                        // 0000000052DC: D81A3FA0 00006B0F
	ds_write_b32 v13, v44 offset:8704                          // 0000000052E4: D81A2200 00002C0D
	ds_write_b32 v13, v45 offset:9760                          // 0000000052EC: D81A2620 00002D0D
	ds_write_b32 v13, v46 offset:10880                         // 0000000052F4: D81A2A80 00002E0D
	ds_write_b32 v13, v47 offset:11936                         // 0000000052FC: D81A2EA0 00002F0D
	s_waitcnt vmcnt(1) lgkmcnt(0)                              // 000000005304: BF8C0071
	s_barrier                                                  // 000000005308: BF8A0000
	ds_read_b128 a[96:99], v12                                 // 00000000530C: DBFE0000 6000000C
	ds_read_b128 a[100:103], v12 offset:512                    // 000000005314: DBFE0200 6400000C
	ds_read_b128 a[104:107], v12 offset:2176                   // 00000000531C: DBFE0880 6800000C
	ds_read_b128 a[108:111], v12 offset:2688                   // 000000005324: DBFE0A80 6C00000C
	ds_read_b128 v[108:111], v12 offset:8704                   // 00000000532C: D9FE2200 6C00000C
	ds_read_b128 v[112:115], v12 offset:9216                   // 000000005334: D9FE2400 7000000C
	ds_read_b128 v[116:119], v12 offset:10880                  // 00000000533C: D9FE2A80 7400000C
	ds_read_b128 v[120:123], v12 offset:11392                  // 000000005344: D9FE2C80 7800000C
	ds_read_b32 v140, v23 offset:39424                         // 00000000534C: D86C9A00 8C000017
	ds_read_b32 v144, v23 offset:39488                         // 000000005354: D86C9A40 90000017
	ds_read_b32 v176, v23 offset:39680                         // 00000000535C: D86C9B00 B0000017
	ds_read_b32 v177, v23 offset:39744                         // 000000005364: D86C9B40 B1000017
	v_accvgpr_write_b32 a112, 0                                // 00000000536C: D3D94070 18000080
	v_mov_b32_e32 v180, 0                                      // 000000005374: 7F680280
	v_accvgpr_write_b32 a113, 0                                // 000000005378: D3D94071 18000080
	v_mov_b32_e32 v181, 0                                      // 000000005380: 7F6A0280
	v_accvgpr_write_b32 a114, 0                                // 000000005384: D3D94072 18000080
	v_mov_b32_e32 v182, 0                                      // 00000000538C: 7F6C0280
	v_accvgpr_write_b32 a115, 0                                // 000000005390: D3D94073 18000080
	v_mov_b32_e32 v183, 0                                      // 000000005398: 7F6E0280
	v_accvgpr_write_b32 a116, 0                                // 00000000539C: D3D94074 18000080
	v_mov_b32_e32 v184, 0                                      // 0000000053A4: 7F700280
	v_accvgpr_write_b32 a117, 0                                // 0000000053A8: D3D94075 18000080
	v_mov_b32_e32 v185, 0                                      // 0000000053B0: 7F720280
	v_accvgpr_write_b32 a118, 0                                // 0000000053B4: D3D94076 18000080
	v_mov_b32_e32 v186, 0                                      // 0000000053BC: 7F740280
	v_accvgpr_write_b32 a119, 0                                // 0000000053C0: D3D94077 18000080
	v_mov_b32_e32 v187, 0                                      // 0000000053C8: 7F760280
	v_accvgpr_write_b32 a120, 0                                // 0000000053CC: D3D94078 18000080
	v_mov_b32_e32 v188, 0                                      // 0000000053D4: 7F780280
	v_accvgpr_write_b32 a121, 0                                // 0000000053D8: D3D94079 18000080
	v_mov_b32_e32 v189, 0                                      // 0000000053E0: 7F7A0280
	v_accvgpr_write_b32 a122, 0                                // 0000000053E4: D3D9407A 18000080
	v_mov_b32_e32 v190, 0                                      // 0000000053EC: 7F7C0280
	v_accvgpr_write_b32 a123, 0                                // 0000000053F0: D3D9407B 18000080
	v_mov_b32_e32 v191, 0                                      // 0000000053F8: 7F7E0280
	v_accvgpr_write_b32 a124, 0                                // 0000000053FC: D3D9407C 18000080
	v_mov_b32_e32 v192, 0                                      // 000000005404: 7F800280
	v_accvgpr_write_b32 a125, 0                                // 000000005408: D3D9407D 18000080
	v_mov_b32_e32 v193, 0                                      // 000000005410: 7F820280
	v_accvgpr_write_b32 a126, 0                                // 000000005414: D3D9407E 18000080
	v_mov_b32_e32 v194, 0                                      // 00000000541C: 7F840280
	v_accvgpr_write_b32 a127, 0                                // 000000005420: D3D9407F 18000080
	v_mov_b32_e32 v195, 0                                      // 000000005428: 7F860280
	v_accvgpr_write_b32 a128, 0                                // 00000000542C: D3D94080 18000080
	v_mov_b32_e32 v196, 0                                      // 000000005434: 7F880280
	v_accvgpr_write_b32 a129, 0                                // 000000005438: D3D94081 18000080
	v_mov_b32_e32 v197, 0                                      // 000000005440: 7F8A0280
	v_accvgpr_write_b32 a130, 0                                // 000000005444: D3D94082 18000080
	v_mov_b32_e32 v198, 0                                      // 00000000544C: 7F8C0280
	v_accvgpr_write_b32 a131, 0                                // 000000005450: D3D94083 18000080
	v_mov_b32_e32 v199, 0                                      // 000000005458: 7F8E0280
	v_accvgpr_write_b32 a132, 0                                // 00000000545C: D3D94084 18000080
	v_mov_b32_e32 v200, 0                                      // 000000005464: 7F900280
	v_accvgpr_write_b32 a133, 0                                // 000000005468: D3D94085 18000080
	v_mov_b32_e32 v201, 0                                      // 000000005470: 7F920280
	v_accvgpr_write_b32 a134, 0                                // 000000005474: D3D94086 18000080
	v_mov_b32_e32 v202, 0                                      // 00000000547C: 7F940280
	v_accvgpr_write_b32 a135, 0                                // 000000005480: D3D94087 18000080
	v_mov_b32_e32 v203, 0                                      // 000000005488: 7F960280
	v_accvgpr_write_b32 a136, 0                                // 00000000548C: D3D94088 18000080
	v_mov_b32_e32 v204, 0                                      // 000000005494: 7F980280
	v_accvgpr_write_b32 a137, 0                                // 000000005498: D3D94089 18000080
	v_mov_b32_e32 v205, 0                                      // 0000000054A0: 7F9A0280
	v_accvgpr_write_b32 a138, 0                                // 0000000054A4: D3D9408A 18000080
	v_mov_b32_e32 v206, 0                                      // 0000000054AC: 7F9C0280
	v_accvgpr_write_b32 a139, 0                                // 0000000054B0: D3D9408B 18000080
	v_mov_b32_e32 v207, 0                                      // 0000000054B8: 7F9E0280
	v_accvgpr_write_b32 a140, 0                                // 0000000054BC: D3D9408C 18000080
	v_mov_b32_e32 v208, 0                                      // 0000000054C4: 7FA00280
	v_accvgpr_write_b32 a141, 0                                // 0000000054C8: D3D9408D 18000080
	v_mov_b32_e32 v209, 0                                      // 0000000054D0: 7FA20280
	v_accvgpr_write_b32 a142, 0                                // 0000000054D4: D3D9408E 18000080
	v_mov_b32_e32 v210, 0                                      // 0000000054DC: 7FA40280
	v_accvgpr_write_b32 a143, 0                                // 0000000054E0: D3D9408F 18000080
	v_mov_b32_e32 v211, 0                                      // 0000000054E8: 7FA60280
	v_accvgpr_write_b32 a144, 0                                // 0000000054EC: D3D94090 18000080
	v_mov_b32_e32 v212, 0                                      // 0000000054F4: 7FA80280
	v_accvgpr_write_b32 a145, 0                                // 0000000054F8: D3D94091 18000080
	v_mov_b32_e32 v213, 0                                      // 000000005500: 7FAA0280
	v_accvgpr_write_b32 a146, 0                                // 000000005504: D3D94092 18000080
	v_mov_b32_e32 v214, 0                                      // 00000000550C: 7FAC0280
	v_accvgpr_write_b32 a147, 0                                // 000000005510: D3D94093 18000080
	v_mov_b32_e32 v215, 0                                      // 000000005518: 7FAE0280
	v_accvgpr_write_b32 a148, 0                                // 00000000551C: D3D94094 18000080
	v_mov_b32_e32 v216, 0                                      // 000000005524: 7FB00280
	v_accvgpr_write_b32 a149, 0                                // 000000005528: D3D94095 18000080
	v_mov_b32_e32 v217, 0                                      // 000000005530: 7FB20280
	v_accvgpr_write_b32 a150, 0                                // 000000005534: D3D94096 18000080
	v_mov_b32_e32 v218, 0                                      // 00000000553C: 7FB40280
	v_accvgpr_write_b32 a151, 0                                // 000000005540: D3D94097 18000080
	v_mov_b32_e32 v219, 0                                      // 000000005548: 7FB60280
	v_accvgpr_write_b32 a152, 0                                // 00000000554C: D3D94098 18000080
	v_mov_b32_e32 v220, 0                                      // 000000005554: 7FB80280
	v_accvgpr_write_b32 a153, 0                                // 000000005558: D3D94099 18000080
	v_mov_b32_e32 v221, 0                                      // 000000005560: 7FBA0280
	v_accvgpr_write_b32 a154, 0                                // 000000005564: D3D9409A 18000080
	v_mov_b32_e32 v222, 0                                      // 00000000556C: 7FBC0280
	v_accvgpr_write_b32 a155, 0                                // 000000005570: D3D9409B 18000080
	v_mov_b32_e32 v223, 0                                      // 000000005578: 7FBE0280
	v_accvgpr_write_b32 a156, 0                                // 00000000557C: D3D9409C 18000080
	v_mov_b32_e32 v224, 0                                      // 000000005584: 7FC00280
	v_accvgpr_write_b32 a157, 0                                // 000000005588: D3D9409D 18000080
	v_mov_b32_e32 v225, 0                                      // 000000005590: 7FC20280
	v_accvgpr_write_b32 a158, 0                                // 000000005594: D3D9409E 18000080
	v_mov_b32_e32 v226, 0                                      // 00000000559C: 7FC40280
	v_accvgpr_write_b32 a159, 0                                // 0000000055A0: D3D9409F 18000080
	v_mov_b32_e32 v227, 0                                      // 0000000055A8: 7FC60280
	v_mov_b32_e32 v156, 0                                      // 0000000055AC: 7F380280
	v_mov_b32_e32 v157, 0                                      // 0000000055B0: 7F3A0280
	v_mov_b32_e32 v158, 0                                      // 0000000055B4: 7F3C0280
	v_mov_b32_e32 v159, 0                                      // 0000000055B8: 7F3E0280
	v_mov_b32_e32 v160, 0                                      // 0000000055BC: 7F400280
	v_mov_b32_e32 v161, 0                                      // 0000000055C0: 7F420280
	v_mov_b32_e32 v162, 0                                      // 0000000055C4: 7F440280
	v_mov_b32_e32 v163, 0                                      // 0000000055C8: 7F460280
	v_mov_b32_e32 v148, 0                                      // 0000000055CC: 7F280280
	v_mov_b32_e32 v149, 0                                      // 0000000055D0: 7F2A0280
	v_mov_b32_e32 v150, 0                                      // 0000000055D4: 7F2C0280
	v_mov_b32_e32 v151, 0                                      // 0000000055D8: 7F2E0280
	v_mov_b32_e32 v152, 0                                      // 0000000055DC: 7F300280
	v_mov_b32_e32 v153, 0                                      // 0000000055E0: 7F320280
	v_mov_b32_e32 v154, 0                                      // 0000000055E4: 7F340280
	v_mov_b32_e32 v155, 0                                      // 0000000055E8: 7F360280
	s_waitcnt lgkmcnt(0)                                       // 0000000055EC: BF8CC07F
	s_barrier                                                  // 0000000055F0: BF8A0000
	buffer_load_dword v36, v1, s[8:11], 0 idxen                // 0000000055F4: E0502000 80022401
	buffer_load_dword v37, v2, s[8:11], 0 idxen                // 0000000055FC: E0502000 80022502
	buffer_load_dword v38, v3, s[8:11], 0 idxen                // 000000005604: E0502000 80022603
	buffer_load_dword v39, v4, s[8:11], 0 idxen                // 00000000560C: E0502000 80022704
	buffer_load_dword v44, v228, s[20:23], 0 idxen             // 000000005614: E0502000 80052CE4
	buffer_load_dword v45, v229, s[20:23], 0 idxen             // 00000000561C: E0502000 80052DE5
	buffer_load_dword v46, v230, s[20:23], 0 idxen             // 000000005624: E0502000 80052EE6
	buffer_load_dword v47, v231, s[20:23], 0 idxen             // 00000000562C: E0502000 80052FE7
	buffer_load_dword v11, s[24:27], 0 idxen lds               // 000000005634: E0512000 8006000B
	s_add_u32 s60, 0x60, s59                                   // 00000000563C: 803C3BFF 00000060
	s_cmp_lt_u32 s60, s58                                      // 000000005644: BF0A3A3C
	s_cselect_b32 s68, s68, 0                                  // 000000005648: 85448044
	s_cselect_b32 s99, s99, 0                                  // 00000000564C: 85638063
	s_cselect_b32 s69, s69, 0                                  // 000000005650: 85458045
	s_mov_b32 m0, s79                                          // 000000005654: BEFC004F
	v_add_u32_e32 v11, s69, v11                                // 000000005658: 68161645
	v_add_u32_e32 v1, s68, v1                                  // 00000000565C: 68020244
	v_add_u32_e32 v2, s68, v2                                  // 000000005660: 68040444
	v_add_u32_e32 v3, s68, v3                                  // 000000005664: 68060644
	v_add_u32_e32 v4, s68, v4                                  // 000000005668: 68080844
	v_add_u32_e32 v228, s99, v228                              // 00000000566C: 69C9C863
	v_add_u32_e32 v229, s99, v229                              // 000000005670: 69CBCA63
	v_add_u32_e32 v230, s99, v230                              // 000000005674: 69CDCC63
	v_add_u32_e32 v231, s99, v231                              // 000000005678: 69CFCE63
	v_mul_f32_e32 v140, s48, v140                              // 00000000567C: 0B191830
	v_mul_f32_e32 v144, s48, v144                              // 000000005680: 0B212030
	v_perm_b32 v100, v41, v40, s63                             // 000000005684: D1ED0064 00FE5129
	v_perm_b32 v101, v41, v40, s64                             // 00000000568C: D1ED0065 01025129
	v_perm_b32 v102, v43, v42, s63                             // 000000005694: D1ED0066 00FE552B
	v_perm_b32 v103, v43, v42, s64                             // 00000000569C: D1ED0067 0102552B
	v_perm_b32 v104, v49, v48, s63                             // 0000000056A4: D1ED0068 00FE6131
	v_perm_b32 v105, v49, v48, s64                             // 0000000056AC: D1ED0069 01026131
	v_perm_b32 v106, v51, v50, s63                             // 0000000056B4: D1ED006A 00FE6533
	v_perm_b32 v107, v51, v50, s64                             // 0000000056BC: D1ED006B 01026533
	v_mov_b32_dpp v143, v140 quad_perm:[3,3,3,3] row_mask:0xf bank_mask:0xf// 0000000056C4: 7F1E02FA FF00FF8C
	v_mov_b32_dpp v142, v140 quad_perm:[2,2,2,2] row_mask:0xf bank_mask:0xf// 0000000056CC: 7F1C02FA FF00AA8C
	v_mov_b32_dpp v141, v140 quad_perm:[1,1,1,1] row_mask:0xf bank_mask:0xf// 0000000056D4: 7F1A02FA FF00558C
	v_mov_b32_dpp v140, v140 quad_perm:[0,0,0,0] row_mask:0xf bank_mask:0xf// 0000000056DC: 7F1802FA FF00008C
	v_mov_b32_dpp v147, v144 quad_perm:[3,3,3,3] row_mask:0xf bank_mask:0xf// 0000000056E4: 7F2602FA FF00FF90
	v_mov_b32_dpp v146, v144 quad_perm:[2,2,2,2] row_mask:0xf bank_mask:0xf// 0000000056EC: 7F2402FA FF00AA90
	v_mov_b32_dpp v145, v144 quad_perm:[1,1,1,1] row_mask:0xf bank_mask:0xf// 0000000056F4: 7F2202FA FF005590
	v_mov_b32_dpp v144, v144 quad_perm:[0,0,0,0] row_mask:0xf bank_mask:0xf// 0000000056FC: 7F2002FA FF000090
	s_waitcnt vmcnt(9)                                         // 000000005704: BF8C0F79
	s_barrier                                                  // 000000005708: BF8A0000
	s_cmp_lt_i32 s46, 2                                        // 00000000570C: BF04822E
	s_cbranch_scc0 label_0EB1                                  // 000000005710: BF84085A
	s_nop 0                                                    // 000000005714: BF800000
	s_nop 0                                                    // 000000005718: BF800000

000000000000571c <label_0647>:
	s_waitcnt lgkmcnt(0)                                       // 00000000571C: BF8CC07F
	s_barrier                                                  // 000000005720: BF8A0000
	v_mfma_f32_16x16x16_f16 v[52:55], a[96:97], a[0:1], 0      // 000000005724: D3CD0034 1A020160
	ds_write_b32 v13, v48 offset:8704                          // 00000000572C: D81A2200 0000300D
	ds_write_b32 v13, v49 offset:9760                          // 000000005734: D81A2620 0000310D
	v_mfma_f32_16x16x16_f16 v[52:55], a[98:99], a[2:3], v[52:55]// 00000000573C: D3CD0034 1CD20562
	v_mul_f32_e32 v148, s47, v148                              // 000000005744: 0B29282F
	v_mul_f32_e32 v149, s47, v149                              // 000000005748: 0B2B2A2F
	v_mfma_f32_16x16x16_f16 v[52:55], a[100:101], a[4:5], v[52:55]// 00000000574C: D3CD0034 1CD20964
	ds_write_b32 v13, v50 offset:10880                         // 000000005754: D81A2A80 0000320D
	ds_write_b32 v13, v51 offset:11936                         // 00000000575C: D81A2EA0 0000330D
	v_mfma_f32_16x16x16_f16 v[52:55], a[102:103], a[6:7], v[52:55]// 000000005764: D3CD0034 1CD20D66
	v_mul_f32_e32 v150, s47, v150                              // 00000000576C: 0B2D2C2F
	v_mul_f32_e32 v151, s47, v151                              // 000000005770: 0B2F2E2F
	v_mfma_f32_16x16x16_f16 v[56:59], a[96:97], a[8:9], 0      // 000000005774: D3CD0038 1A021160
	ds_write_b64 v22, v[148:149] offset:31232                  // 00000000577C: D89A7A00 00009416
	v_mfma_f32_16x16x16_f16 v[56:59], a[98:99], a[10:11], v[56:59]// 000000005784: D3CD0038 1CE21562
	v_mul_f32_e32 v152, s47, v152                              // 00000000578C: 0B31302F
	v_mul_f32_e32 v153, s47, v153                              // 000000005790: 0B33322F
	v_mfma_f32_16x16x16_f16 v[56:59], a[100:101], a[12:13], v[56:59]// 000000005794: D3CD0038 1CE21964
	ds_write_b64 v22, v[150:151] offset:31744                  // 00000000579C: D89A7C00 00009616
	v_mfma_f32_16x16x16_f16 v[56:59], a[102:103], a[14:15], v[56:59]// 0000000057A4: D3CD0038 1CE21D66
	v_mul_f32_e32 v154, s47, v154                              // 0000000057AC: 0B35342F
	v_mul_f32_e32 v155, s47, v155                              // 0000000057B0: 0B37362F
	v_mfma_f32_16x16x16_f16 v[60:63], a[96:97], a[16:17], 0    // 0000000057B4: D3CD003C 1A022160
	ds_write_b64 v22, v[152:153] offset:32256                  // 0000000057BC: D89A7E00 00009816
	v_mfma_f32_16x16x16_f16 v[60:63], a[98:99], a[18:19], v[60:63]// 0000000057C4: D3CD003C 1CF22562
	buffer_atomic_add_f32 v160, v8, s[32:35], 0 idxen          // 0000000057CC: E1342000 8008A008
	v_mfma_f32_16x16x16_f16 v[60:63], a[100:101], a[20:21], v[60:63]// 0000000057D4: D3CD003C 1CF22964
	ds_write_b64 v22, v[154:155] offset:32768                  // 0000000057DC: D89A8000 00009A16
	v_mfma_f32_16x16x16_f16 v[60:63], a[102:103], a[22:23], v[60:63]// 0000000057E4: D3CD003C 1CF22D66
	v_mfma_f32_16x16x16_f16 v[64:67], a[104:105], a[0:1], 0    // 0000000057EC: D3CD0040 1A020168
	ds_read_b128 v[124:127], v14 offset:13056                  // 0000000057F4: D9FE3300 7C00000E
	ds_write_b32 v13, v40                                      // 0000000057FC: D81A0000 0000280D
	v_mfma_f32_16x16x16_f16 v[64:67], a[106:107], a[2:3], v[64:67]// 000000005804: D3CD0040 1D02056A
	buffer_atomic_add_f32 v161, v9, s[32:35], 0 idxen          // 00000000580C: E1342000 8008A109
	v_mfma_f32_16x16x16_f16 v[64:67], a[108:109], a[4:5], v[64:67]// 000000005814: D3CD0040 1D02096C
	v_mfma_f32_16x16x16_f16 v[64:67], a[110:111], a[6:7], v[64:67]// 00000000581C: D3CD0040 1D020D6E
	ds_read_b128 v[128:131], v14 offset:13568                  // 000000005824: D9FE3500 8000000E
	ds_write_b32 v13, v41 offset:1056                          // 00000000582C: D81A0420 0000290D
	v_mfma_f32_16x16x16_f16 v[68:71], a[104:105], a[8:9], 0    // 000000005834: D3CD0044 1A021168
	buffer_atomic_add_f32 v162, v8, s[32:35], 0 idxen offset:128// 00000000583C: E1342080 8008A208
	v_mfma_f32_16x16x16_f16 v[68:71], a[106:107], a[10:11], v[68:71]// 000000005844: D3CD0044 1D12156A
	v_mfma_f32_16x16x16_f16 v[68:71], a[108:109], a[12:13], v[68:71]// 00000000584C: D3CD0044 1D12196C
	ds_read_b128 v[132:135], v14 offset:15232                  // 000000005854: D9FE3B80 8400000E
	ds_write_b32 v13, v42 offset:2176                          // 00000000585C: D81A0880 00002A0D
	v_mfma_f32_16x16x16_f16 v[68:71], a[110:111], a[14:15], v[68:71]// 000000005864: D3CD0044 1D121D6E
	v_mfma_f32_16x16x16_f16 v[72:75], a[104:105], a[16:17], 0  // 00000000586C: D3CD0048 1A022168
	buffer_atomic_add_f32 v163, v9, s[32:35], 0 idxen offset:128// 000000005874: E1342080 8008A309
	v_mfma_f32_16x16x16_f16 v[72:75], a[106:107], a[18:19], v[72:75]// 00000000587C: D3CD0048 1D22256A
	ds_read_b128 v[136:139], v14 offset:15744                  // 000000005884: D9FE3D80 8800000E
	ds_write_b32 v13, v43 offset:3232                          // 00000000588C: D81A0CA0 00002B0D
	v_mfma_f32_16x16x16_f16 v[72:75], a[108:109], a[20:21], v[72:75]// 000000005894: D3CD0048 1D22296C
	v_mfma_f32_16x16x16_f16 v[72:75], a[110:111], a[22:23], v[72:75]// 00000000589C: D3CD0048 1D222D6E
	s_cmp_lt_i32 s74, 12                                       // 0000000058A4: BF048C4A
	s_cbranch_scc0 label_0791                                  // 0000000058A8: BF8400E6
	s_mov_b32 s60, 0xffe0fffe                                  // 0000000058AC: BEBC00FF FFE0FFFE
	s_mov_b32 s61, 0xe000fe00                                  // 0000000058B4: BEBD00FF E000FE00
	s_nop 0                                                    // 0000000058BC: BF800000
	s_add_u32 s62, 0, s46                                      // 0000000058C0: 803E2E80
	s_cmp_lt_i32 s74, s62                                      // 0000000058C4: BF043E4A
	s_cbranch_scc1 label_06DB                                  // 0000000058C8: BF850028
	s_cmp_eq_i32 s74, s62                                      // 0000000058CC: BF003E4A
	s_cbranch_scc1 label_06C0                                  // 0000000058D0: BF85000B
	s_add_u32 s62, 4, s46                                      // 0000000058D4: 803E2E84
	s_cmp_lt_i32 s74, s62                                      // 0000000058D8: BF043E4A
	s_cbranch_scc1 label_06FB                                  // 0000000058DC: BF850043
	s_cmp_eq_i32 s74, s62                                      // 0000000058E0: BF003E4A
	s_cbranch_scc1 label_06E0                                  // 0000000058E4: BF850026
	s_add_u32 s62, 8, s46                                      // 0000000058E8: 803E2E88
	s_cmp_lt_i32 s74, s62                                      // 0000000058EC: BF043E4A
	s_cbranch_scc1 label_071B                                  // 0000000058F0: BF85005E
	s_cmp_eq_i32 s74, s62                                      // 0000000058F4: BF003E4A
	s_cbranch_scc1 label_0700                                  // 0000000058F8: BF850041
	s_branch label_0720                                        // 0000000058FC: BF820060

0000000000005900 <label_06C0>:
	v_cndmask_b32_e64 v52, v52, v178, s[60:61]                 // 000000005900: D1000034 00F36534
	s_lshl_b32 s60, s60, 1                                     // 000000005908: 8E3C813C
	s_lshl_b32 s61, s61, 1                                     // 00000000590C: 8E3D813D
	s_and_b32 s60, 0xfffeffff, s60                             // 000000005910: 863C3CFF FFFEFFFF
	s_and_b32 s61, 0xfffeffff, s61                             // 000000005918: 863D3DFF FFFEFFFF
	v_cndmask_b32_e64 v53, v53, v178, s[60:61]                 // 000000005920: D1000035 00F36535
	s_lshl_b32 s60, s60, 1                                     // 000000005928: 8E3C813C
	s_lshl_b32 s61, s61, 1                                     // 00000000592C: 8E3D813D
	s_and_b32 s60, 0xfffeffff, s60                             // 000000005930: 863C3CFF FFFEFFFF
	s_and_b32 s61, 0xfffeffff, s61                             // 000000005938: 863D3DFF FFFEFFFF
	v_cndmask_b32_e64 v54, v54, v178, s[60:61]                 // 000000005940: D1000036 00F36536
	s_lshl_b32 s60, s60, 1                                     // 000000005948: 8E3C813C
	s_lshl_b32 s61, s61, 1                                     // 00000000594C: 8E3D813D
	s_and_b32 s60, 0xfffeffff, s60                             // 000000005950: 863C3CFF FFFEFFFF
	s_and_b32 s61, 0xfffeffff, s61                             // 000000005958: 863D3DFF FFFEFFFF
	v_cndmask_b32_e64 v55, v55, v178, s[60:61]                 // 000000005960: D1000037 00F36537
	s_branch label_06FB                                        // 000000005968: BF820020

000000000000596c <label_06DB>:
	v_mov_b32_e32 v52, v178                                    // 00000000596C: 7E6803B2
	v_mov_b32_e32 v53, v178                                    // 000000005970: 7E6A03B2
	v_mov_b32_e32 v54, v178                                    // 000000005974: 7E6C03B2
	v_mov_b32_e32 v55, v178                                    // 000000005978: 7E6E03B2
	s_branch label_06FB                                        // 00000000597C: BF82001B

0000000000005980 <label_06E0>:
	v_cndmask_b32_e64 v56, v56, v178, s[60:61]                 // 000000005980: D1000038 00F36538
	s_lshl_b32 s60, s60, 1                                     // 000000005988: 8E3C813C
	s_lshl_b32 s61, s61, 1                                     // 00000000598C: 8E3D813D
	s_and_b32 s60, 0xfffeffff, s60                             // 000000005990: 863C3CFF FFFEFFFF
	s_and_b32 s61, 0xfffeffff, s61                             // 000000005998: 863D3DFF FFFEFFFF
	v_cndmask_b32_e64 v57, v57, v178, s[60:61]                 // 0000000059A0: D1000039 00F36539
	s_lshl_b32 s60, s60, 1                                     // 0000000059A8: 8E3C813C
	s_lshl_b32 s61, s61, 1                                     // 0000000059AC: 8E3D813D
	s_and_b32 s60, 0xfffeffff, s60                             // 0000000059B0: 863C3CFF FFFEFFFF
	s_and_b32 s61, 0xfffeffff, s61                             // 0000000059B8: 863D3DFF FFFEFFFF
	v_cndmask_b32_e64 v58, v58, v178, s[60:61]                 // 0000000059C0: D100003A 00F3653A
	s_lshl_b32 s60, s60, 1                                     // 0000000059C8: 8E3C813C
	s_lshl_b32 s61, s61, 1                                     // 0000000059CC: 8E3D813D
	s_and_b32 s60, 0xfffeffff, s60                             // 0000000059D0: 863C3CFF FFFEFFFF
	s_and_b32 s61, 0xfffeffff, s61                             // 0000000059D8: 863D3DFF FFFEFFFF
	v_cndmask_b32_e64 v59, v59, v178, s[60:61]                 // 0000000059E0: D100003B 00F3653B
	s_branch label_071B                                        // 0000000059E8: BF820020

00000000000059ec <label_06FB>:
	v_mov_b32_e32 v56, v178                                    // 0000000059EC: 7E7003B2
	v_mov_b32_e32 v57, v178                                    // 0000000059F0: 7E7203B2
	v_mov_b32_e32 v58, v178                                    // 0000000059F4: 7E7403B2
	v_mov_b32_e32 v59, v178                                    // 0000000059F8: 7E7603B2
	s_branch label_071B                                        // 0000000059FC: BF82001B

0000000000005a00 <label_0700>:
	v_cndmask_b32_e64 v60, v60, v178, s[60:61]                 // 000000005A00: D100003C 00F3653C
	s_lshl_b32 s60, s60, 1                                     // 000000005A08: 8E3C813C
	s_lshl_b32 s61, s61, 1                                     // 000000005A0C: 8E3D813D
	s_and_b32 s60, 0xfffeffff, s60                             // 000000005A10: 863C3CFF FFFEFFFF
	s_and_b32 s61, 0xfffeffff, s61                             // 000000005A18: 863D3DFF FFFEFFFF
	v_cndmask_b32_e64 v61, v61, v178, s[60:61]                 // 000000005A20: D100003D 00F3653D
	s_lshl_b32 s60, s60, 1                                     // 000000005A28: 8E3C813C
	s_lshl_b32 s61, s61, 1                                     // 000000005A2C: 8E3D813D
	s_and_b32 s60, 0xfffeffff, s60                             // 000000005A30: 863C3CFF FFFEFFFF
	s_and_b32 s61, 0xfffeffff, s61                             // 000000005A38: 863D3DFF FFFEFFFF
	v_cndmask_b32_e64 v62, v62, v178, s[60:61]                 // 000000005A40: D100003E 00F3653E
	s_lshl_b32 s60, s60, 1                                     // 000000005A48: 8E3C813C
	s_lshl_b32 s61, s61, 1                                     // 000000005A4C: 8E3D813D
	s_and_b32 s60, 0xfffeffff, s60                             // 000000005A50: 863C3CFF FFFEFFFF
	s_and_b32 s61, 0xfffeffff, s61                             // 000000005A58: 863D3DFF FFFEFFFF
	v_cndmask_b32_e64 v63, v63, v178, s[60:61]                 // 000000005A60: D100003F 00F3653F
	s_branch label_0720                                        // 000000005A68: BF820005

0000000000005a6c <label_071B>:
	v_mov_b32_e32 v60, v178                                    // 000000005A6C: 7E7803B2
	v_mov_b32_e32 v61, v178                                    // 000000005A70: 7E7A03B2
	v_mov_b32_e32 v62, v178                                    // 000000005A74: 7E7C03B2
	v_mov_b32_e32 v63, v178                                    // 000000005A78: 7E7E03B2
	s_branch label_0720                                        // 000000005A7C: BF820000

0000000000005a80 <label_0720>:
	s_addk_i32 s74, 0x1                                        // 000000005A80: B74A0001
	s_add_u32 s62, 0, s46                                      // 000000005A84: 803E2E80
	s_cmp_lt_i32 s74, s62                                      // 000000005A88: BF043E4A
	s_cbranch_scc1 label_074C                                  // 000000005A8C: BF850028
	s_cmp_eq_i32 s74, s62                                      // 000000005A90: BF003E4A
	s_cbranch_scc1 label_0731                                  // 000000005A94: BF85000B
	s_add_u32 s62, 4, s46                                      // 000000005A98: 803E2E84
	s_cmp_lt_i32 s74, s62                                      // 000000005A9C: BF043E4A
	s_cbranch_scc1 label_076C                                  // 000000005AA0: BF850043
	s_cmp_eq_i32 s74, s62                                      // 000000005AA4: BF003E4A
	s_cbranch_scc1 label_0751                                  // 000000005AA8: BF850026
	s_add_u32 s62, 8, s46                                      // 000000005AAC: 803E2E88
	s_cmp_lt_i32 s74, s62                                      // 000000005AB0: BF043E4A
	s_cbranch_scc1 label_078C                                  // 000000005AB4: BF85005E
	s_cmp_eq_i32 s74, s62                                      // 000000005AB8: BF003E4A
	s_cbranch_scc1 label_0771                                  // 000000005ABC: BF850041
	s_branch label_0791                                        // 000000005AC0: BF820060

0000000000005ac4 <label_0731>:
	v_cndmask_b32_e64 v64, v64, v178, s[60:61]                 // 000000005AC4: D1000040 00F36540
	s_lshl_b32 s60, s60, 1                                     // 000000005ACC: 8E3C813C
	s_lshl_b32 s61, s61, 1                                     // 000000005AD0: 8E3D813D
	s_and_b32 s60, 0xfffeffff, s60                             // 000000005AD4: 863C3CFF FFFEFFFF
	s_and_b32 s61, 0xfffeffff, s61                             // 000000005ADC: 863D3DFF FFFEFFFF
	v_cndmask_b32_e64 v65, v65, v178, s[60:61]                 // 000000005AE4: D1000041 00F36541
	s_lshl_b32 s60, s60, 1                                     // 000000005AEC: 8E3C813C
	s_lshl_b32 s61, s61, 1                                     // 000000005AF0: 8E3D813D
	s_and_b32 s60, 0xfffeffff, s60                             // 000000005AF4: 863C3CFF FFFEFFFF
	s_and_b32 s61, 0xfffeffff, s61                             // 000000005AFC: 863D3DFF FFFEFFFF
	v_cndmask_b32_e64 v66, v66, v178, s[60:61]                 // 000000005B04: D1000042 00F36542
	s_lshl_b32 s60, s60, 1                                     // 000000005B0C: 8E3C813C
	s_lshl_b32 s61, s61, 1                                     // 000000005B10: 8E3D813D
	s_and_b32 s60, 0xfffeffff, s60                             // 000000005B14: 863C3CFF FFFEFFFF
	s_and_b32 s61, 0xfffeffff, s61                             // 000000005B1C: 863D3DFF FFFEFFFF
	v_cndmask_b32_e64 v67, v67, v178, s[60:61]                 // 000000005B24: D1000043 00F36543
	s_branch label_076C                                        // 000000005B2C: BF820020

0000000000005b30 <label_074C>:
	v_mov_b32_e32 v64, v178                                    // 000000005B30: 7E8003B2
	v_mov_b32_e32 v65, v178                                    // 000000005B34: 7E8203B2
	v_mov_b32_e32 v66, v178                                    // 000000005B38: 7E8403B2
	v_mov_b32_e32 v67, v178                                    // 000000005B3C: 7E8603B2
	s_branch label_076C                                        // 000000005B40: BF82001B

0000000000005b44 <label_0751>:
	v_cndmask_b32_e64 v68, v68, v178, s[60:61]                 // 000000005B44: D1000044 00F36544
	s_lshl_b32 s60, s60, 1                                     // 000000005B4C: 8E3C813C
	s_lshl_b32 s61, s61, 1                                     // 000000005B50: 8E3D813D
	s_and_b32 s60, 0xfffeffff, s60                             // 000000005B54: 863C3CFF FFFEFFFF
	s_and_b32 s61, 0xfffeffff, s61                             // 000000005B5C: 863D3DFF FFFEFFFF
	v_cndmask_b32_e64 v69, v69, v178, s[60:61]                 // 000000005B64: D1000045 00F36545
	s_lshl_b32 s60, s60, 1                                     // 000000005B6C: 8E3C813C
	s_lshl_b32 s61, s61, 1                                     // 000000005B70: 8E3D813D
	s_and_b32 s60, 0xfffeffff, s60                             // 000000005B74: 863C3CFF FFFEFFFF
	s_and_b32 s61, 0xfffeffff, s61                             // 000000005B7C: 863D3DFF FFFEFFFF
	v_cndmask_b32_e64 v70, v70, v178, s[60:61]                 // 000000005B84: D1000046 00F36546
	s_lshl_b32 s60, s60, 1                                     // 000000005B8C: 8E3C813C
	s_lshl_b32 s61, s61, 1                                     // 000000005B90: 8E3D813D
	s_and_b32 s60, 0xfffeffff, s60                             // 000000005B94: 863C3CFF FFFEFFFF
	s_and_b32 s61, 0xfffeffff, s61                             // 000000005B9C: 863D3DFF FFFEFFFF
	v_cndmask_b32_e64 v71, v71, v178, s[60:61]                 // 000000005BA4: D1000047 00F36547
	s_branch label_078C                                        // 000000005BAC: BF820020

0000000000005bb0 <label_076C>:
	v_mov_b32_e32 v68, v178                                    // 000000005BB0: 7E8803B2
	v_mov_b32_e32 v69, v178                                    // 000000005BB4: 7E8A03B2
	v_mov_b32_e32 v70, v178                                    // 000000005BB8: 7E8C03B2
	v_mov_b32_e32 v71, v178                                    // 000000005BBC: 7E8E03B2
	s_branch label_078C                                        // 000000005BC0: BF82001B

0000000000005bc4 <label_0771>:
	v_cndmask_b32_e64 v72, v72, v178, s[60:61]                 // 000000005BC4: D1000048 00F36548
	s_lshl_b32 s60, s60, 1                                     // 000000005BCC: 8E3C813C
	s_lshl_b32 s61, s61, 1                                     // 000000005BD0: 8E3D813D
	s_and_b32 s60, 0xfffeffff, s60                             // 000000005BD4: 863C3CFF FFFEFFFF
	s_and_b32 s61, 0xfffeffff, s61                             // 000000005BDC: 863D3DFF FFFEFFFF
	v_cndmask_b32_e64 v73, v73, v178, s[60:61]                 // 000000005BE4: D1000049 00F36549
	s_lshl_b32 s60, s60, 1                                     // 000000005BEC: 8E3C813C
	s_lshl_b32 s61, s61, 1                                     // 000000005BF0: 8E3D813D
	s_and_b32 s60, 0xfffeffff, s60                             // 000000005BF4: 863C3CFF FFFEFFFF
	s_and_b32 s61, 0xfffeffff, s61                             // 000000005BFC: 863D3DFF FFFEFFFF
	v_cndmask_b32_e64 v74, v74, v178, s[60:61]                 // 000000005C04: D100004A 00F3654A
	s_lshl_b32 s60, s60, 1                                     // 000000005C0C: 8E3C813C
	s_lshl_b32 s61, s61, 1                                     // 000000005C10: 8E3D813D
	s_and_b32 s60, 0xfffeffff, s60                             // 000000005C14: 863C3CFF FFFEFFFF
	s_and_b32 s61, 0xfffeffff, s61                             // 000000005C1C: 863D3DFF FFFEFFFF
	v_cndmask_b32_e64 v75, v75, v178, s[60:61]                 // 000000005C24: D100004B 00F3654B
	s_branch label_0791                                        // 000000005C2C: BF820005

0000000000005c30 <label_078C>:
	v_mov_b32_e32 v72, v178                                    // 000000005C30: 7E9003B2
	v_mov_b32_e32 v73, v178                                    // 000000005C34: 7E9203B2
	v_mov_b32_e32 v74, v178                                    // 000000005C38: 7E9403B2
	v_mov_b32_e32 v75, v178                                    // 000000005C3C: 7E9603B2
	s_branch label_0791                                        // 000000005C40: BF820000

0000000000005c44 <label_0791>:
	s_cmp_lt_i32 s101, 0xc0                                    // 000000005C44: BF04FF65 000000C0
	s_cbranch_scc0 label_080A                                  // 000000005C4C: BF84006D
	s_cmp_le_i32 s101, 64                                      // 000000005C50: BF05C065
	s_cbranch_scc1 label_079D                                  // 000000005C54: BF850007
	s_cmp_le_i32 s101, 0x80                                    // 000000005C58: BF05FF65 00000080
	s_cbranch_scc1 label_07C1                                  // 000000005C60: BF85001F
	s_cmp_lt_i32 s101, 0xc0                                    // 000000005C64: BF04FF65 000000C0
	s_cbranch_scc1 label_07E5                                  // 000000005C6C: BF850040
	s_branch label_080A                                        // 000000005C70: BF820064

0000000000005c74 <label_079D>:
	s_mov_b32 s60, 0                                           // 000000005C74: BEBC0080
	v_and_b32_e32 v32, 15, v0                                  // 000000005C78: 2640008F
	v_add_u32_e64 v32, v32, s60                                // 000000005C7C: D1340020 00007920
	v_mul_i32_i24_e64 v33, s46, 16                             // 000000005C84: D1060021 0001202E
	v_add_u32_e32 v32, v32, v33                                // 000000005C8C: 68404320
	v_cmp_lt_u32_e64 s[60:61], v32, s101                       // 000000005C90: D0C9003C 0000CB20
	s_nop 1                                                    // 000000005C98: BF800001
	v_cndmask_b32_e64 v52, v178, v52, s[60:61]                 // 000000005C9C: D1000034 00F269B2
	v_cndmask_b32_e64 v64, v178, v64, s[60:61]                 // 000000005CA4: D1000040 00F281B2
	v_cndmask_b32_e64 v53, v178, v53, s[60:61]                 // 000000005CAC: D1000035 00F26BB2
	v_cndmask_b32_e64 v65, v178, v65, s[60:61]                 // 000000005CB4: D1000041 00F283B2
	v_cndmask_b32_e64 v54, v178, v54, s[60:61]                 // 000000005CBC: D1000036 00F26DB2
	v_cndmask_b32_e64 v66, v178, v66, s[60:61]                 // 000000005CC4: D1000042 00F285B2
	v_cndmask_b32_e64 v55, v178, v55, s[60:61]                 // 000000005CCC: D1000037 00F26FB2
	v_cndmask_b32_e64 v67, v178, v67, s[60:61]                 // 000000005CD4: D1000043 00F287B2
	s_branch label_07DC                                        // 000000005CDC: BF82001B

0000000000005ce0 <label_07C1>:
	s_mov_b32 s60, 64                                          // 000000005CE0: BEBC00C0
	v_and_b32_e32 v32, 15, v0                                  // 000000005CE4: 2640008F
	v_add_u32_e64 v32, v32, s60                                // 000000005CE8: D1340020 00007920
	v_mul_i32_i24_e64 v33, s46, 16                             // 000000005CF0: D1060021 0001202E
	v_add_u32_e32 v32, v32, v33                                // 000000005CF8: 68404320
	v_cmp_lt_u32_e64 s[60:61], v32, s101                       // 000000005CFC: D0C9003C 0000CB20
	s_nop 1                                                    // 000000005D04: BF800001
	v_cndmask_b32_e64 v56, v178, v56, s[60:61]                 // 000000005D08: D1000038 00F271B2
	v_cndmask_b32_e64 v68, v178, v68, s[60:61]                 // 000000005D10: D1000044 00F289B2
	v_cndmask_b32_e64 v57, v178, v57, s[60:61]                 // 000000005D18: D1000039 00F273B2
	v_cndmask_b32_e64 v69, v178, v69, s[60:61]                 // 000000005D20: D1000045 00F28BB2
	v_cndmask_b32_e64 v58, v178, v58, s[60:61]                 // 000000005D28: D100003A 00F275B2
	v_cndmask_b32_e64 v70, v178, v70, s[60:61]                 // 000000005D30: D1000046 00F28DB2
	v_cndmask_b32_e64 v59, v178, v59, s[60:61]                 // 000000005D38: D100003B 00F277B2
	v_cndmask_b32_e64 v71, v178, v71, s[60:61]                 // 000000005D40: D1000047 00F28FB2
	s_branch label_0801                                        // 000000005D48: BF820025

0000000000005d4c <label_07DC>:
	v_mov_b32_e32 v56, v178                                    // 000000005D4C: 7E7003B2
	v_mov_b32_e32 v68, v178                                    // 000000005D50: 7E8803B2
	v_mov_b32_e32 v57, v178                                    // 000000005D54: 7E7203B2
	v_mov_b32_e32 v69, v178                                    // 000000005D58: 7E8A03B2
	v_mov_b32_e32 v58, v178                                    // 000000005D5C: 7E7403B2
	v_mov_b32_e32 v70, v178                                    // 000000005D60: 7E8C03B2
	v_mov_b32_e32 v59, v178                                    // 000000005D64: 7E7603B2
	v_mov_b32_e32 v71, v178                                    // 000000005D68: 7E8E03B2
	s_branch label_0801                                        // 000000005D6C: BF82001C

0000000000005d70 <label_07E5>:
	s_mov_b32 s60, 0x80                                        // 000000005D70: BEBC00FF 00000080
	v_and_b32_e32 v32, 15, v0                                  // 000000005D78: 2640008F
	v_add_u32_e64 v32, v32, s60                                // 000000005D7C: D1340020 00007920
	v_mul_i32_i24_e64 v33, s46, 16                             // 000000005D84: D1060021 0001202E
	v_add_u32_e32 v32, v32, v33                                // 000000005D8C: 68404320
	v_cmp_lt_u32_e64 s[60:61], v32, s101                       // 000000005D90: D0C9003C 0000CB20
	s_nop 1                                                    // 000000005D98: BF800001
	v_cndmask_b32_e64 v60, v178, v60, s[60:61]                 // 000000005D9C: D100003C 00F279B2
	v_cndmask_b32_e64 v72, v178, v72, s[60:61]                 // 000000005DA4: D1000048 00F291B2
	v_cndmask_b32_e64 v61, v178, v61, s[60:61]                 // 000000005DAC: D100003D 00F27BB2
	v_cndmask_b32_e64 v73, v178, v73, s[60:61]                 // 000000005DB4: D1000049 00F293B2
	v_cndmask_b32_e64 v62, v178, v62, s[60:61]                 // 000000005DBC: D100003E 00F27DB2
	v_cndmask_b32_e64 v74, v178, v74, s[60:61]                 // 000000005DC4: D100004A 00F295B2
	v_cndmask_b32_e64 v63, v178, v63, s[60:61]                 // 000000005DCC: D100003F 00F27FB2
	v_cndmask_b32_e64 v75, v178, v75, s[60:61]                 // 000000005DD4: D100004B 00F297B2
	s_branch label_080A                                        // 000000005DDC: BF820009

0000000000005de0 <label_0801>:
	v_mov_b32_e32 v60, v178                                    // 000000005DE0: 7E7803B2
	v_mov_b32_e32 v72, v178                                    // 000000005DE4: 7E9003B2
	v_mov_b32_e32 v61, v178                                    // 000000005DE8: 7E7A03B2
	v_mov_b32_e32 v73, v178                                    // 000000005DEC: 7E9203B2
	v_mov_b32_e32 v62, v178                                    // 000000005DF0: 7E7C03B2
	v_mov_b32_e32 v74, v178                                    // 000000005DF4: 7E9403B2
	v_mov_b32_e32 v63, v178                                    // 000000005DF8: 7E7E03B2
	v_mov_b32_e32 v75, v178                                    // 000000005DFC: 7E9603B2
	s_branch label_080A                                        // 000000005E00: BF820000

0000000000005e04 <label_080A>:
	s_addk_i32 s74, 0x1                                        // 000000005E04: B74A0001
	s_waitcnt lgkmcnt(8)                                       // 000000005E08: BF8CC87F
	s_barrier                                                  // 000000005E0C: BF8A0000
	v_mfma_f32_16x16x16_f16 v[76:79], v[108:109], a[72:73], 0  // 000000005E10: D3CD004C 1202916C
	ds_read_b128 a[96:99], v14 offset:4352                     // 000000005E18: DBFE1100 6000000E
	ds_read_b128 a[100:103], v14 offset:4864                   // 000000005E20: DBFE1300 6400000E
	v_mfma_f32_16x16x16_f16 v[76:79], v[110:111], a[74:75], v[76:79]// 000000005E28: D3CD004C 1532956E
	v_fma_f32 v52, v52, s57, -v140                             // 000000005E30: D1CB0034 86307334
	v_fma_f32 v53, v53, s57, -v141                             // 000000005E38: D1CB0035 86347335
	v_fma_f32 v54, v54, s57, -v142                             // 000000005E40: D1CB0036 86387336
	v_fma_f32 v55, v55, s57, -v143                             // 000000005E48: D1CB0037 863C7337
	v_fma_f32 v56, v56, s57, -v140                             // 000000005E50: D1CB0038 86307338
	v_fma_f32 v57, v57, s57, -v141                             // 000000005E58: D1CB0039 86347339
	v_mfma_f32_16x16x16_f16 v[76:79], v[112:113], a[76:77], v[76:79]// 000000005E60: D3CD004C 15329970
	v_fma_f32 v58, v58, s57, -v142                             // 000000005E68: D1CB003A 8638733A
	v_fma_f32 v59, v59, s57, -v143                             // 000000005E70: D1CB003B 863C733B
	v_fma_f32 v60, v60, s57, -v140                             // 000000005E78: D1CB003C 8630733C
	v_fma_f32 v61, v61, s57, -v141                             // 000000005E80: D1CB003D 8634733D
	v_fma_f32 v62, v62, s57, -v142                             // 000000005E88: D1CB003E 8638733E
	v_fma_f32 v63, v63, s57, -v143                             // 000000005E90: D1CB003F 863C733F
	v_mfma_f32_16x16x16_f16 v[76:79], v[114:115], a[78:79], v[76:79]// 000000005E98: D3CD004C 15329D72
	v_fma_f32 v64, v64, s57, -v144                             // 000000005EA0: D1CB0040 86407340
	v_fma_f32 v65, v65, s57, -v145                             // 000000005EA8: D1CB0041 86447341
	v_fma_f32 v66, v66, s57, -v146                             // 000000005EB0: D1CB0042 86487342
	v_fma_f32 v67, v67, s57, -v147                             // 000000005EB8: D1CB0043 864C7343
	v_fma_f32 v68, v68, s57, -v144                             // 000000005EC0: D1CB0044 86407344
	v_fma_f32 v69, v69, s57, -v145                             // 000000005EC8: D1CB0045 86447345
	v_mfma_f32_16x16x16_f16 v[80:83], v[108:109], a[80:81], 0  // 000000005ED0: D3CD0050 1202A16C
	ds_read_b128 a[104:107], v14 offset:6528                   // 000000005ED8: DBFE1980 6800000E
	ds_read_b128 a[108:111], v14 offset:7040                   // 000000005EE0: DBFE1B80 6C00000E
	v_mfma_f32_16x16x16_f16 v[80:83], v[110:111], a[82:83], v[80:83]// 000000005EE8: D3CD0050 1542A56E
	v_fma_f32 v70, v70, s57, -v146                             // 000000005EF0: D1CB0046 86487346
	v_fma_f32 v71, v71, s57, -v147                             // 000000005EF8: D1CB0047 864C7347
	v_fma_f32 v72, v72, s57, -v144                             // 000000005F00: D1CB0048 86407348
	v_fma_f32 v73, v73, s57, -v145                             // 000000005F08: D1CB0049 86447349
	v_fma_f32 v74, v74, s57, -v146                             // 000000005F10: D1CB004A 8648734A
	v_fma_f32 v75, v75, s57, -v147                             // 000000005F18: D1CB004B 864C734B
	v_mfma_f32_16x16x16_f16 v[80:83], v[112:113], a[84:85], v[80:83]// 000000005F20: D3CD0050 1542A970
	v_exp_f32_e32 v52, v52                                     // 000000005F28: 7E684134
	v_exp_f32_e32 v53, v53                                     // 000000005F2C: 7E6A4135
	v_mfma_f32_16x16x16_f16 v[80:83], v[114:115], a[86:87], v[80:83]// 000000005F30: D3CD0050 1542AD72
	v_exp_f32_e32 v54, v54                                     // 000000005F38: 7E6C4136
	v_exp_f32_e32 v55, v55                                     // 000000005F3C: 7E6E4137
	v_mfma_f32_16x16x16_f16 v[84:87], v[108:109], a[88:89], 0  // 000000005F40: D3CD0054 1202B16C
	ds_read_b64 v[156:157], v21 offset:31232                   // 000000005F48: D8EC7A00 9C000015
	ds_read_b64 v[158:159], v21 offset:33280                   // 000000005F50: D8EC8200 9E000015
	v_mfma_f32_16x16x16_f16 v[84:87], v[110:111], a[90:91], v[84:87]// 000000005F58: D3CD0054 1552B56E
	v_exp_f32_e32 v56, v56                                     // 000000005F60: 7E704138
	v_exp_f32_e32 v57, v57                                     // 000000005F64: 7E724139
	v_mfma_f32_16x16x16_f16 v[84:87], v[112:113], a[92:93], v[84:87]// 000000005F68: D3CD0054 1552B970
	ds_read_b64 v[160:161], v21 offset:35328                   // 000000005F70: D8EC8A00 A0000015
	ds_read_b64 v[162:163], v21 offset:37376                   // 000000005F78: D8EC9200 A2000015
	v_mfma_f32_16x16x16_f16 v[84:87], v[114:115], a[94:95], v[84:87]// 000000005F80: D3CD0054 1552BD72
	v_exp_f32_e32 v58, v58                                     // 000000005F88: 7E74413A
	v_exp_f32_e32 v59, v59                                     // 000000005F8C: 7E76413B
	v_mfma_f32_16x16x16_f16 v[88:91], v[116:117], a[72:73], 0  // 000000005F90: D3CD0058 12029174
	v_exp_f32_e32 v60, v60                                     // 000000005F98: 7E78413C
	v_exp_f32_e32 v61, v61                                     // 000000005F9C: 7E7A413D
	v_mfma_f32_16x16x16_f16 v[88:91], v[118:119], a[74:75], v[88:91]// 000000005FA0: D3CD0058 15629576
	v_exp_f32_e32 v62, v62                                     // 000000005FA8: 7E7C413E
	v_exp_f32_e32 v63, v63                                     // 000000005FAC: 7E7E413F
	v_mfma_f32_16x16x16_f16 v[88:91], v[120:121], a[76:77], v[88:91]// 000000005FB0: D3CD0058 15629978
	v_exp_f32_e32 v64, v64                                     // 000000005FB8: 7E804140
	v_exp_f32_e32 v65, v65                                     // 000000005FBC: 7E824141
	v_mfma_f32_16x16x16_f16 v[88:91], v[122:123], a[78:79], v[88:91]// 000000005FC0: D3CD0058 15629D7A
	v_exp_f32_e32 v66, v66                                     // 000000005FC8: 7E844142
	v_exp_f32_e32 v67, v67                                     // 000000005FCC: 7E864143
	v_mfma_f32_16x16x16_f16 v[92:95], v[116:117], a[80:81], 0  // 000000005FD0: D3CD005C 1202A174
	v_exp_f32_e32 v68, v68                                     // 000000005FD8: 7E884144
	v_exp_f32_e32 v69, v69                                     // 000000005FDC: 7E8A4145
	v_mfma_f32_16x16x16_f16 v[92:95], v[118:119], a[82:83], v[92:95]// 000000005FE0: D3CD005C 1572A576
	v_exp_f32_e32 v70, v70                                     // 000000005FE8: 7E8C4146
	v_exp_f32_e32 v71, v71                                     // 000000005FEC: 7E8E4147
	v_mfma_f32_16x16x16_f16 v[92:95], v[120:121], a[84:85], v[92:95]// 000000005FF0: D3CD005C 1572A978
	v_exp_f32_e32 v72, v72                                     // 000000005FF8: 7E904148
	v_exp_f32_e32 v73, v73                                     // 000000005FFC: 7E924149
	v_mfma_f32_16x16x16_f16 v[92:95], v[122:123], a[86:87], v[92:95]// 000000006000: D3CD005C 1572AD7A
	v_exp_f32_e32 v74, v74                                     // 000000006008: 7E94414A
	v_exp_f32_e32 v75, v75                                     // 00000000600C: 7E96414B
	v_mfma_f32_16x16x16_f16 v[96:99], v[116:117], a[88:89], 0  // 000000006010: D3CD0060 1202B174
	v_cvt_pkrtz_f16_f32 v164, v52, v53                         // 000000006018: D29600A4 00026B34
	v_cvt_pkrtz_f16_f32 v165, v54, v55                         // 000000006020: D29600A5 00026F36
	v_cvt_pkrtz_f16_f32 v166, v56, v57                         // 000000006028: D29600A6 00027338
	v_cvt_pkrtz_f16_f32 v167, v58, v59                         // 000000006030: D29600A7 0002773A
	v_cvt_pkrtz_f16_f32 v168, v60, v61                         // 000000006038: D29600A8 00027B3C
	v_cvt_pkrtz_f16_f32 v169, v62, v63                         // 000000006040: D29600A9 00027F3E
	v_mfma_f32_16x16x16_f16 v[96:99], v[118:119], a[90:91], v[96:99]// 000000006048: D3CD0060 1582B576
	v_cvt_pkrtz_f16_f32 v170, v64, v65                         // 000000006050: D29600AA 00028340
	v_cvt_pkrtz_f16_f32 v171, v66, v67                         // 000000006058: D29600AB 00028742
	v_cvt_pkrtz_f16_f32 v172, v68, v69                         // 000000006060: D29600AC 00028B44
	v_cvt_pkrtz_f16_f32 v173, v70, v71                         // 000000006068: D29600AD 00028F46
	v_cvt_pkrtz_f16_f32 v174, v72, v73                         // 000000006070: D29600AE 00029348
	v_cvt_pkrtz_f16_f32 v175, v74, v75                         // 000000006078: D29600AF 0002974A
	v_mfma_f32_16x16x16_f16 v[96:99], v[120:121], a[92:93], v[96:99]// 000000006080: D3CD0060 1582B978
	v_add_u32_e32 v6, s66, v6                                  // 000000006088: 680C0C42
	v_add_u32_e32 v7, s66, v7                                  // 00000000608C: 680E0E42
	v_add_u32_e32 v8, s66, v8                                  // 000000006090: 68101042
	v_add_u32_e32 v9, s66, v9                                  // 000000006094: 68121242
	v_mfma_f32_16x16x16_f16 v[96:99], v[122:123], a[94:95], v[96:99]// 000000006098: D3CD0060 1582BD7A
	s_waitcnt lgkmcnt(0)                                       // 0000000060A0: BF8CC07F
	s_barrier                                                  // 0000000060A4: BF8A0000
	v_mfma_f32_16x16x16_f16 v[180:183], v[124:125], v[164:165], v[180:183]// 0000000060A8: D3CD00B4 06D3497C
	v_subrev_f32_dpp v76, v176, v76 quad_perm:[0,0,0,0] row_mask:0xf bank_mask:0xf// 0000000060B0: 069898FA FF0000B0
	v_subrev_f32_dpp v77, v176, v77 quad_perm:[1,1,1,1] row_mask:0xf bank_mask:0xf// 0000000060B8: 069A9AFA FF0055B0
	v_subrev_f32_dpp v78, v176, v78 quad_perm:[2,2,2,2] row_mask:0xf bank_mask:0xf// 0000000060C0: 069C9CFA FF00AAB0
	v_subrev_f32_dpp v79, v176, v79 quad_perm:[3,3,3,3] row_mask:0xf bank_mask:0xf// 0000000060C8: 069E9EFA FF00FFB0
	v_subrev_f32_dpp v80, v176, v80 quad_perm:[0,0,0,0] row_mask:0xf bank_mask:0xf// 0000000060D0: 06A0A0FA FF0000B0
	v_subrev_f32_dpp v81, v176, v81 quad_perm:[1,1,1,1] row_mask:0xf bank_mask:0xf// 0000000060D8: 06A2A2FA FF0055B0
	v_mfma_f32_16x16x16_f16 v[184:187], v[126:127], v[164:165], v[184:187]// 0000000060E0: D3CD00B8 06E3497E
	v_subrev_f32_dpp v82, v176, v82 quad_perm:[2,2,2,2] row_mask:0xf bank_mask:0xf// 0000000060E8: 06A4A4FA FF00AAB0
	v_subrev_f32_dpp v83, v176, v83 quad_perm:[3,3,3,3] row_mask:0xf bank_mask:0xf// 0000000060F0: 06A6A6FA FF00FFB0
	v_subrev_f32_dpp v84, v176, v84 quad_perm:[0,0,0,0] row_mask:0xf bank_mask:0xf// 0000000060F8: 06A8A8FA FF0000B0
	v_subrev_f32_dpp v85, v176, v85 quad_perm:[1,1,1,1] row_mask:0xf bank_mask:0xf// 000000006100: 06AAAAFA FF0055B0
	v_subrev_f32_dpp v86, v176, v86 quad_perm:[2,2,2,2] row_mask:0xf bank_mask:0xf// 000000006108: 06ACACFA FF00AAB0
	v_subrev_f32_dpp v87, v176, v87 quad_perm:[3,3,3,3] row_mask:0xf bank_mask:0xf// 000000006110: 06AEAEFA FF00FFB0
	v_mfma_f32_16x16x16_f16 v[188:191], v[128:129], v[164:165], v[188:191]// 000000006118: D3CD00BC 06F34980
	v_mul_f32_e32 v76, v52, v76                                // 000000006120: 0A989934
	v_mul_f32_e32 v77, v53, v77                                // 000000006124: 0A9A9B35
	v_mul_f32_e32 v78, v54, v78                                // 000000006128: 0A9C9D36
	v_mul_f32_e32 v79, v55, v79                                // 00000000612C: 0A9E9F37
	v_mul_f32_e32 v80, v56, v80                                // 000000006130: 0AA0A138
	v_mul_f32_e32 v81, v57, v81                                // 000000006134: 0AA2A339
	v_mfma_f32_16x16x16_f16 v[192:195], v[130:131], v[164:165], v[192:195]// 000000006138: D3CD00C0 07034982
	v_mul_f32_e32 v82, v58, v82                                // 000000006140: 0AA4A53A
	v_mul_f32_e32 v83, v59, v83                                // 000000006144: 0AA6A73B
	v_mul_f32_e32 v84, v60, v84                                // 000000006148: 0AA8A93C
	v_mul_f32_e32 v85, v61, v85                                // 00000000614C: 0AAAAB3D
	v_mul_f32_e32 v86, v62, v86                                // 000000006150: 0AACAD3E
	v_mul_f32_e32 v87, v63, v87                                // 000000006154: 0AAEAF3F
	v_mfma_f32_16x16x16_f16 v[196:199], v[124:125], v[166:167], v[196:199]// 000000006158: D3CD00C4 07134D7C
	v_cvt_pkrtz_f16_f32 v76, v76, v77                          // 000000006160: D296004C 00029B4C
	v_cvt_pkrtz_f16_f32 v77, v78, v79                          // 000000006168: D296004D 00029F4E
	v_cvt_pkrtz_f16_f32 v78, v80, v81                          // 000000006170: D296004E 0002A350
	v_cvt_pkrtz_f16_f32 v79, v82, v83                          // 000000006178: D296004F 0002A752
	v_cvt_pkrtz_f16_f32 v80, v84, v85                          // 000000006180: D2960050 0002AB54
	v_cvt_pkrtz_f16_f32 v81, v86, v87                          // 000000006188: D2960051 0002AF56
	v_mfma_f32_16x16x16_f16 v[200:203], v[126:127], v[166:167], v[200:203]// 000000006190: D3CD00C8 07234D7E
	v_mov_b32_dpp v18, v76 quad_perm:[1,0,3,2] row_mask:0xf bank_mask:0xf// 000000006198: 7E2402FA FF00B14C
	v_perm_b32 v52, v18, v76, v17                              // 0000000061A0: D1ED0034 04469912
	v_mov_b32_dpp v18, v77 quad_perm:[1,0,3,2] row_mask:0xf bank_mask:0xf// 0000000061A8: 7E2402FA FF00B14D
	v_perm_b32 v53, v18, v77, v17                              // 0000000061B0: D1ED0035 04469B12
	v_mov_b32_dpp v18, v78 quad_perm:[1,0,3,2] row_mask:0xf bank_mask:0xf// 0000000061B8: 7E2402FA FF00B14E
	v_perm_b32 v54, v18, v78, v17                              // 0000000061C0: D1ED0036 04469D12
	v_mfma_f32_16x16x16_f16 v[204:207], v[128:129], v[166:167], v[204:207]// 0000000061C8: D3CD00CC 07334D80
	v_mov_b32_dpp v18, v79 quad_perm:[1,0,3,2] row_mask:0xf bank_mask:0xf// 0000000061D0: 7E2402FA FF00B14F
	v_perm_b32 v55, v18, v79, v17                              // 0000000061D8: D1ED0037 04469F12
	v_mov_b32_dpp v18, v80 quad_perm:[1,0,3,2] row_mask:0xf bank_mask:0xf// 0000000061E0: 7E2402FA FF00B150
	v_perm_b32 v56, v18, v80, v17                              // 0000000061E8: D1ED0038 0446A112
	v_mov_b32_dpp v18, v81 quad_perm:[1,0,3,2] row_mask:0xf bank_mask:0xf// 0000000061F0: 7E2402FA FF00B151
	v_perm_b32 v57, v18, v81, v17                              // 0000000061F8: D1ED0039 0446A312
	v_mfma_f32_16x16x16_f16 v[208:211], v[130:131], v[166:167], v[208:211]// 000000006200: D3CD00D0 07434D82
	ds_write_b32 v20, v52 offset:17408                         // 000000006208: D81A4400 00003414
	ds_write_b32 v20, v53 offset:17952                         // 000000006210: D81A4620 00003514
	v_mfma_f32_16x16x16_f16 v[212:215], v[124:125], v[168:169], v[212:215]// 000000006218: D3CD00D4 0753517C
	v_subrev_f32_dpp v88, v177, v88 quad_perm:[0,0,0,0] row_mask:0xf bank_mask:0xf// 000000006220: 06B0B0FA FF0000B1
	v_subrev_f32_dpp v89, v177, v89 quad_perm:[1,1,1,1] row_mask:0xf bank_mask:0xf// 000000006228: 06B2B2FA FF0055B1
	v_subrev_f32_dpp v90, v177, v90 quad_perm:[2,2,2,2] row_mask:0xf bank_mask:0xf// 000000006230: 06B4B4FA FF00AAB1
	v_subrev_f32_dpp v91, v177, v91 quad_perm:[3,3,3,3] row_mask:0xf bank_mask:0xf// 000000006238: 06B6B6FA FF00FFB1
	v_subrev_f32_dpp v92, v177, v92 quad_perm:[0,0,0,0] row_mask:0xf bank_mask:0xf// 000000006240: 06B8B8FA FF0000B1
	v_subrev_f32_dpp v93, v177, v93 quad_perm:[1,1,1,1] row_mask:0xf bank_mask:0xf// 000000006248: 06BABAFA FF0055B1
	v_mfma_f32_16x16x16_f16 v[216:219], v[126:127], v[168:169], v[216:219]// 000000006250: D3CD00D8 0763517E
	ds_write_b32 v20, v54 offset:19712                         // 000000006258: D81A4D00 00003614
	ds_write_b32 v20, v55 offset:20256                         // 000000006260: D81A4F20 00003714
	v_mfma_f32_16x16x16_f16 v[220:223], v[128:129], v[168:169], v[220:223]// 000000006268: D3CD00DC 07735180
	v_subrev_f32_dpp v94, v177, v94 quad_perm:[2,2,2,2] row_mask:0xf bank_mask:0xf// 000000006270: 06BCBCFA FF00AAB1
	v_subrev_f32_dpp v95, v177, v95 quad_perm:[3,3,3,3] row_mask:0xf bank_mask:0xf// 000000006278: 06BEBEFA FF00FFB1
	v_subrev_f32_dpp v96, v177, v96 quad_perm:[0,0,0,0] row_mask:0xf bank_mask:0xf// 000000006280: 06C0C0FA FF0000B1
	v_subrev_f32_dpp v97, v177, v97 quad_perm:[1,1,1,1] row_mask:0xf bank_mask:0xf// 000000006288: 06C2C2FA FF0055B1
	v_subrev_f32_dpp v98, v177, v98 quad_perm:[2,2,2,2] row_mask:0xf bank_mask:0xf// 000000006290: 06C4C4FA FF00AAB1
	v_subrev_f32_dpp v99, v177, v99 quad_perm:[3,3,3,3] row_mask:0xf bank_mask:0xf// 000000006298: 06C6C6FA FF00FFB1
	v_mfma_f32_16x16x16_f16 v[224:227], v[130:131], v[168:169], v[224:227]// 0000000062A0: D3CD00E0 07835182
	ds_write_b32 v20, v56 offset:22016                         // 0000000062A8: D81A5600 00003814
	ds_write_b32 v20, v57 offset:22560                         // 0000000062B0: D81A5820 00003914
	v_mfma_f32_16x16x16_f16 v[180:183], v[132:133], v[170:171], v[180:183]// 0000000062B8: D3CD00B4 06D35584
	v_mul_f32_e32 v88, v64, v88                                // 0000000062C0: 0AB0B140
	v_mul_f32_e32 v89, v65, v89                                // 0000000062C4: 0AB2B341
	v_mul_f32_e32 v90, v66, v90                                // 0000000062C8: 0AB4B542
	v_mul_f32_e32 v91, v67, v91                                // 0000000062CC: 0AB6B743
	v_mul_f32_e32 v92, v68, v92                                // 0000000062D0: 0AB8B944
	v_mul_f32_e32 v93, v69, v93                                // 0000000062D4: 0ABABB45
	v_mfma_f32_16x16x16_f16 v[184:187], v[134:135], v[170:171], v[184:187]// 0000000062D8: D3CD00B8 06E35586
	v_mul_f32_e32 v94, v70, v94                                // 0000000062E0: 0ABCBD46
	v_mul_f32_e32 v95, v71, v95                                // 0000000062E4: 0ABEBF47
	v_mul_f32_e32 v96, v72, v96                                // 0000000062E8: 0AC0C148
	v_mul_f32_e32 v97, v73, v97                                // 0000000062EC: 0AC2C349
	v_mul_f32_e32 v98, v74, v98                                // 0000000062F0: 0AC4C54A
	v_mul_f32_e32 v99, v75, v99                                // 0000000062F4: 0AC6C74B
	v_mfma_f32_16x16x16_f16 v[188:191], v[136:137], v[170:171], v[188:191]// 0000000062F8: D3CD00BC 06F35588
	v_cvt_pkrtz_f16_f32 v82, v88, v89                          // 000000006300: D2960052 0002B358
	v_cvt_pkrtz_f16_f32 v83, v90, v91                          // 000000006308: D2960053 0002B75A
	v_cvt_pkrtz_f16_f32 v84, v92, v93                          // 000000006310: D2960054 0002BB5C
	v_cvt_pkrtz_f16_f32 v85, v94, v95                          // 000000006318: D2960055 0002BF5E
	v_cvt_pkrtz_f16_f32 v86, v96, v97                          // 000000006320: D2960056 0002C360
	v_cvt_pkrtz_f16_f32 v87, v98, v99                          // 000000006328: D2960057 0002C762
	v_mfma_f32_16x16x16_f16 v[192:195], v[138:139], v[170:171], v[192:195]// 000000006330: D3CD00C0 0703558A
	v_mov_b32_dpp v18, v82 quad_perm:[1,0,3,2] row_mask:0xf bank_mask:0xf// 000000006338: 7E2402FA FF00B152
	v_perm_b32 v58, v18, v82, v17                              // 000000006340: D1ED003A 0446A512
	v_mov_b32_dpp v18, v83 quad_perm:[1,0,3,2] row_mask:0xf bank_mask:0xf// 000000006348: 7E2402FA FF00B153
	v_perm_b32 v59, v18, v83, v17                              // 000000006350: D1ED003B 0446A712
	v_mov_b32_dpp v18, v84 quad_perm:[1,0,3,2] row_mask:0xf bank_mask:0xf// 000000006358: 7E2402FA FF00B154
	v_perm_b32 v60, v18, v84, v17                              // 000000006360: D1ED003C 0446A912
	v_mfma_f32_16x16x16_f16 v[196:199], v[132:133], v[172:173], v[196:199]// 000000006368: D3CD00C4 07135984
	v_mov_b32_dpp v18, v85 quad_perm:[1,0,3,2] row_mask:0xf bank_mask:0xf// 000000006370: 7E2402FA FF00B155
	v_perm_b32 v61, v18, v85, v17                              // 000000006378: D1ED003D 0446AB12
	v_mov_b32_dpp v18, v86 quad_perm:[1,0,3,2] row_mask:0xf bank_mask:0xf// 000000006380: 7E2402FA FF00B156
	v_perm_b32 v62, v18, v86, v17                              // 000000006388: D1ED003E 0446AD12
	v_mov_b32_dpp v18, v87 quad_perm:[1,0,3,2] row_mask:0xf bank_mask:0xf// 000000006390: 7E2402FA FF00B157
	v_perm_b32 v63, v18, v87, v17                              // 000000006398: D1ED003F 0446AF12
	v_mfma_f32_16x16x16_f16 v[200:203], v[134:135], v[172:173], v[200:203]// 0000000063A0: D3CD00C8 07235986
	ds_write_b32 v20, v58 offset:24320                         // 0000000063A8: D81A5F00 00003A14
	ds_write_b32 v20, v59 offset:24864                         // 0000000063B0: D81A6120 00003B14
	v_mfma_f32_16x16x16_f16 v[204:207], v[136:137], v[172:173], v[204:207]// 0000000063B8: D3CD00CC 07335988
	v_mfma_f32_16x16x16_f16 v[208:211], v[138:139], v[172:173], v[208:211]// 0000000063C0: D3CD00D0 0743598A
	ds_write_b32 v20, v60 offset:26624                         // 0000000063C8: D81A6800 00003C14
	ds_write_b32 v20, v61 offset:27168                         // 0000000063D0: D81A6A20 00003D14
	ds_write_b32 v20, v62 offset:28928                         // 0000000063D8: D81A7100 00003E14
	ds_write_b32 v20, v63 offset:29472                         // 0000000063E0: D81A7320 00003F14
	v_mfma_f32_16x16x16_f16 v[212:215], v[132:133], v[174:175], v[212:215]// 0000000063E8: D3CD00D4 07535D84
	v_mfma_f32_16x16x16_f16 v[216:219], v[134:135], v[174:175], v[216:219]// 0000000063F0: D3CD00D8 07635D86
	ds_write_b32 v15, v100 offset:4352                         // 0000000063F8: D81A1100 0000640F
	ds_write_b32 v15, v101 offset:5408                         // 000000006400: D81A1520 0000650F
	v_mfma_f32_16x16x16_f16 v[220:223], v[136:137], v[174:175], v[220:223]// 000000006408: D3CD00DC 07735D88
	s_nop 0                                                    // 000000006410: BF800000
	s_nop 0                                                    // 000000006414: BF800000
	s_nop 0                                                    // 000000006418: BF800000
	v_mfma_f32_16x16x16_f16 v[224:227], v[138:139], v[174:175], v[224:227]// 00000000641C: D3CD00E0 07835D8A
	ds_write_b32 v15, v102 offset:6528                         // 000000006424: D81A1980 0000660F
	ds_write_b32 v15, v103 offset:7584                         // 00000000642C: D81A1DA0 0000670F
	s_barrier                                                  // 000000006434: BF8A0000
	v_mfma_f32_16x16x16_f16 a[112:115], a[96:97], v[76:77], a[112:115]// 000000006438: D3CD8070 0DC29960
	buffer_atomic_add_f32 v156, v6, s[32:35], 0 idxen          // 000000006440: E1342000 80089C06
	v_mfma_f32_16x16x16_f16 a[116:119], a[98:99], v[76:77], a[116:119]// 000000006448: D3CD8074 0DD29962
	ds_read_b32 v140, v23 offset:39936                         // 000000006450: D86C9C00 8C000017
	ds_read_b32 v144, v23 offset:40000                         // 000000006458: D86C9C40 90000017
	ds_read_b32 v176, v23 offset:40192                         // 000000006460: D86C9D00 B0000017
	ds_read_b32 v177, v23 offset:40256                         // 000000006468: D86C9D40 B1000017
	v_mfma_f32_16x16x16_f16 a[120:123], a[100:101], v[76:77], a[120:123]// 000000006470: D3CD8078 0DE29964
	s_waitcnt lgkmcnt(8)                                       // 000000006478: BF8CC87F
	s_barrier                                                  // 00000000647C: BF8A0000
	v_mfma_f32_16x16x16_f16 a[124:127], a[102:103], v[76:77], a[124:127]// 000000006480: D3CD807C 0DF29966
	ds_read_b128 v[52:55], v19 offset:17408                    // 000000006488: D9FE4400 34000013
	v_mfma_f32_16x16x16_f16 a[128:131], a[96:97], v[78:79], a[128:131]// 000000006490: D3CD8080 0E029D60
	v_mfma_f32_16x16x16_f16 a[132:135], a[98:99], v[78:79], a[132:135]// 000000006498: D3CD8084 0E129D62
	ds_read_b128 v[56:59], v19 offset:18560                    // 0000000064A0: D9FE4880 38000013
	v_mfma_f32_16x16x16_f16 a[136:139], a[100:101], v[78:79], a[136:139]// 0000000064A8: D3CD8088 0E229D64
	buffer_atomic_add_f32 v157, v7, s[32:35], 0 idxen          // 0000000064B0: E1342000 80089D07
	v_mfma_f32_16x16x16_f16 a[140:143], a[102:103], v[78:79], a[140:143]// 0000000064B8: D3CD808C 0E329D66
	ds_read_b128 v[60:63], v19 offset:19712                    // 0000000064C0: D9FE4D00 3C000013
	v_mfma_f32_16x16x16_f16 a[144:147], a[96:97], v[80:81], a[144:147]// 0000000064C8: D3CD8090 0E42A160
	v_mfma_f32_16x16x16_f16 a[148:151], a[98:99], v[80:81], a[148:151]// 0000000064D0: D3CD8094 0E52A162
	ds_read_b128 v[64:67], v19 offset:20864                    // 0000000064D8: D9FE5180 40000013
	v_mfma_f32_16x16x16_f16 a[152:155], a[100:101], v[80:81], a[152:155]// 0000000064E0: D3CD8098 0E62A164
	v_mfma_f32_16x16x16_f16 a[156:159], a[102:103], v[80:81], a[156:159]// 0000000064E8: D3CD809C 0E72A166
	ds_read_b128 v[68:71], v19 offset:22016                    // 0000000064F0: D9FE5600 44000013
	v_mfma_f32_16x16x16_f16 a[112:115], a[104:105], v[82:83], a[112:115]// 0000000064F8: D3CD8070 0DC2A568
	buffer_atomic_add_f32 v158, v6, s[32:35], 0 idxen offset:128// 000000006500: E1342080 80089E06
	v_mfma_f32_16x16x16_f16 a[116:119], a[106:107], v[82:83], a[116:119]// 000000006508: D3CD8074 0DD2A56A
	ds_read_b128 v[72:75], v19 offset:23168                    // 000000006510: D9FE5A80 48000013
	v_mfma_f32_16x16x16_f16 a[120:123], a[108:109], v[82:83], a[120:123]// 000000006518: D3CD8078 0DE2A56C
	v_mfma_f32_16x16x16_f16 a[124:127], a[110:111], v[82:83], a[124:127]// 000000006520: D3CD807C 0DF2A56E
	ds_write_b32 v15, v104 offset:13056                        // 000000006528: D81A3300 0000680F
	v_mfma_f32_16x16x16_f16 a[128:131], a[104:105], v[84:85], a[128:131]// 000000006530: D3CD8080 0E02A968
	v_mfma_f32_16x16x16_f16 a[132:135], a[106:107], v[84:85], a[132:135]// 000000006538: D3CD8084 0E12A96A
	ds_write_b32 v15, v105 offset:14112                        // 000000006540: D81A3720 0000690F
	v_mfma_f32_16x16x16_f16 a[136:139], a[108:109], v[84:85], a[136:139]// 000000006548: D3CD8088 0E22A96C
	buffer_atomic_add_f32 v159, v7, s[32:35], 0 idxen offset:128// 000000006550: E1342080 80089F07
	v_mfma_f32_16x16x16_f16 a[140:143], a[110:111], v[84:85], a[140:143]// 000000006558: D3CD808C 0E32A96E
	ds_write_b32 v15, v106 offset:15232                        // 000000006560: D81A3B80 00006A0F
	v_mfma_f32_16x16x16_f16 a[144:147], a[104:105], v[86:87], a[144:147]// 000000006568: D3CD8090 0E42AD68
	v_mfma_f32_16x16x16_f16 a[148:151], a[106:107], v[86:87], a[148:151]// 000000006570: D3CD8094 0E52AD6A
	ds_write_b32 v15, v107 offset:16288                        // 000000006578: D81A3FA0 00006B0F
	v_mfma_f32_16x16x16_f16 a[152:155], a[108:109], v[86:87], a[152:155]// 000000006580: D3CD8098 0E62AD6C
	v_mfma_f32_16x16x16_f16 a[156:159], a[110:111], v[86:87], a[156:159]// 000000006588: D3CD809C 0E72AD6E
	s_waitcnt vmcnt(8) lgkmcnt(4)                              // 000000006590: BF8C0478
	s_barrier                                                  // 000000006594: BF8A0000
	v_mfma_f32_16x16x16_f16 v[148:151], v[52:53], a[24:25], 0  // 000000006598: D3CD0094 12023134
	v_mul_f32_e32 v140, s48, v140                              // 0000000065A0: 0B191830
	v_mul_f32_e32 v144, s48, v144                              // 0000000065A4: 0B212030
	s_nop 0                                                    // 0000000065A8: BF800000
	v_mfma_f32_16x16x16_f16 v[148:151], v[54:55], a[28:29], v[148:151]// 0000000065AC: D3CD0094 16523936
	ds_read_b128 a[96:99], v12                                 // 0000000065B4: DBFE0000 6000000C
	buffer_load_dword v40, v1, s[8:11], 0 idxen                // 0000000065BC: E0502000 80022801
	v_mfma_f32_16x16x16_f16 v[148:151], v[56:57], a[32:33], v[148:151]// 0000000065C4: D3CD0094 16524138
	v_mfma_f32_16x16x16_f16 v[148:151], v[58:59], a[36:37], v[148:151]// 0000000065CC: D3CD0094 1652493A
	ds_read_b128 a[100:103], v12 offset:512                    // 0000000065D4: DBFE0200 6400000C
	buffer_load_dword v41, v2, s[8:11], 0 idxen                // 0000000065DC: E0502000 80022902
	v_mfma_f32_16x16x16_f16 v[148:151], v[60:61], a[40:41], v[148:151]// 0000000065E4: D3CD0094 1652513C
	v_perm_b32 v100, v37, v36, s63                             // 0000000065EC: D1ED0064 00FE4925
	v_perm_b32 v101, v37, v36, s64                             // 0000000065F4: D1ED0065 01024925
	v_mfma_f32_16x16x16_f16 v[148:151], v[62:63], a[44:45], v[148:151]// 0000000065FC: D3CD0094 1652593E
	ds_read_b128 a[104:107], v12 offset:2176                   // 000000006604: DBFE0880 6800000C
	buffer_load_dword v42, v3, s[8:11], 0 idxen                // 00000000660C: E0502000 80022A03
	v_mfma_f32_16x16x16_f16 v[148:151], v[64:65], a[48:49], v[148:151]// 000000006614: D3CD0094 16526140
	v_perm_b32 v102, v39, v38, s63                             // 00000000661C: D1ED0066 00FE4D27
	v_perm_b32 v103, v39, v38, s64                             // 000000006624: D1ED0067 01024D27
	v_mfma_f32_16x16x16_f16 v[148:151], v[66:67], a[52:53], v[148:151]// 00000000662C: D3CD0094 16526942
	ds_read_b128 a[108:111], v12 offset:2688                   // 000000006634: DBFE0A80 6C00000C
	buffer_load_dword v43, v4, s[8:11], 0 idxen                // 00000000663C: E0502000 80022B04
	v_mfma_f32_16x16x16_f16 v[148:151], v[68:69], a[56:57], v[148:151]// 000000006644: D3CD0094 16527144
	v_perm_b32 v104, v45, v44, s63                             // 00000000664C: D1ED0068 00FE592D
	v_perm_b32 v105, v45, v44, s64                             // 000000006654: D1ED0069 0102592D
	v_mfma_f32_16x16x16_f16 v[148:151], v[70:71], a[60:61], v[148:151]// 00000000665C: D3CD0094 16527946
	ds_read_b128 v[108:111], v12 offset:8704                   // 000000006664: D9FE2200 6C00000C
	buffer_load_dword v48, v228, s[20:23], 0 idxen             // 00000000666C: E0502000 800530E4
	v_mfma_f32_16x16x16_f16 v[148:151], v[72:73], a[64:65], v[148:151]// 000000006674: D3CD0094 16528148
	v_perm_b32 v106, v47, v46, s63                             // 00000000667C: D1ED006A 00FE5D2F
	v_perm_b32 v107, v47, v46, s64                             // 000000006684: D1ED006B 01025D2F
	v_mfma_f32_16x16x16_f16 v[148:151], v[74:75], a[68:69], v[148:151]// 00000000668C: D3CD0094 1652894A
	ds_read_b128 v[112:115], v12 offset:9216                   // 000000006694: D9FE2400 7000000C
	buffer_load_dword v49, v229, s[20:23], 0 idxen             // 00000000669C: E0502000 800531E5
	v_mfma_f32_16x16x16_f16 v[152:155], v[52:53], a[26:27], 0  // 0000000066A4: D3CD0098 12023534
	v_mov_b32_dpp v143, v140 quad_perm:[3,3,3,3] row_mask:0xf bank_mask:0xf// 0000000066AC: 7F1E02FA FF00FF8C
	v_mov_b32_dpp v142, v140 quad_perm:[2,2,2,2] row_mask:0xf bank_mask:0xf// 0000000066B4: 7F1C02FA FF00AA8C
	v_mov_b32_dpp v141, v140 quad_perm:[1,1,1,1] row_mask:0xf bank_mask:0xf// 0000000066BC: 7F1A02FA FF00558C
	v_mov_b32_dpp v140, v140 quad_perm:[0,0,0,0] row_mask:0xf bank_mask:0xf// 0000000066C4: 7F1802FA FF00008C
	v_mfma_f32_16x16x16_f16 v[152:155], v[54:55], a[30:31], v[152:155]// 0000000066CC: D3CD0098 16623D36
	ds_read_b128 v[116:119], v12 offset:10880                  // 0000000066D4: D9FE2A80 7400000C
	buffer_load_dword v50, v230, s[20:23], 0 idxen             // 0000000066DC: E0502000 800532E6
	v_mfma_f32_16x16x16_f16 v[152:155], v[56:57], a[34:35], v[152:155]// 0000000066E4: D3CD0098 16624538
	v_mov_b32_dpp v147, v144 quad_perm:[3,3,3,3] row_mask:0xf bank_mask:0xf// 0000000066EC: 7F2602FA FF00FF90
	v_mov_b32_dpp v146, v144 quad_perm:[2,2,2,2] row_mask:0xf bank_mask:0xf// 0000000066F4: 7F2402FA FF00AA90
	v_mov_b32_dpp v145, v144 quad_perm:[1,1,1,1] row_mask:0xf bank_mask:0xf// 0000000066FC: 7F2202FA FF005590
	v_mov_b32_dpp v144, v144 quad_perm:[0,0,0,0] row_mask:0xf bank_mask:0xf// 000000006704: 7F2002FA FF000090
	s_add_u32 s60, 0x80, s59                                   // 00000000670C: 803C3BFF 00000080
	v_mfma_f32_16x16x16_f16 v[152:155], v[58:59], a[38:39], v[152:155]// 000000006714: D3CD0098 16624D3A
	ds_read_b128 v[120:123], v12 offset:11392                  // 00000000671C: D9FE2C80 7800000C
	buffer_load_dword v51, v231, s[20:23], 0 idxen             // 000000006724: E0502000 800533E7
	v_mfma_f32_16x16x16_f16 v[152:155], v[60:61], a[42:43], v[152:155]// 00000000672C: D3CD0098 1662553C
	s_cmp_lt_u32 s60, s58                                      // 000000006734: BF0A3A3C
	s_cselect_b32 s68, s68, 0                                  // 000000006738: 85448044
	s_cselect_b32 s99, s99, 0                                  // 00000000673C: 85638063
	s_cselect_b32 s69, s69, 0                                  // 000000006740: 85458045
	v_mfma_f32_16x16x16_f16 v[152:155], v[62:63], a[46:47], v[152:155]// 000000006744: D3CD0098 16625D3E
	buffer_load_dword v11, s[24:27], 0 idxen lds               // 00000000674C: E0512000 8006000B
	v_mfma_f32_16x16x16_f16 v[152:155], v[64:65], a[50:51], v[152:155]// 000000006754: D3CD0098 16626540
	v_add_u32_e32 v1, s68, v1                                  // 00000000675C: 68020244
	v_add_u32_e32 v2, s68, v2                                  // 000000006760: 68040444
	v_add_u32_e32 v3, s68, v3                                  // 000000006764: 68060644
	;; [unrolled: 1-line block ×3, first 2 shown]
	v_mfma_f32_16x16x16_f16 v[152:155], v[66:67], a[54:55], v[152:155]// 00000000676C: D3CD0098 16626D42
	v_add_u32_e32 v228, s99, v228                              // 000000006774: 69C9C863
	v_add_u32_e32 v229, s99, v229                              // 000000006778: 69CBCA63
	v_add_u32_e32 v230, s99, v230                              // 00000000677C: 69CDCC63
	v_add_u32_e32 v231, s99, v231                              // 000000006780: 69CFCE63
	v_mfma_f32_16x16x16_f16 v[152:155], v[68:69], a[58:59], v[152:155]// 000000006784: D3CD0098 16627544
	s_mov_b32 m0, s78                                          // 00000000678C: BEFC004E
	v_add_u32_e32 v11, s69, v11                                // 000000006790: 68161645
	v_mfma_f32_16x16x16_f16 v[152:155], v[70:71], a[62:63], v[152:155]// 000000006794: D3CD0098 16627D46
	s_cmp_ge_u32 s59, s73                                      // 00000000679C: BF09493B
	s_cselect_b32 s66, s67, s66                                // 0000000067A0: 85424243
	v_mfma_f32_16x16x16_f16 v[152:155], v[72:73], a[66:67], v[152:155]// 0000000067A4: D3CD0098 16628548
	s_addk_i32 s59, 0x20                                       // 0000000067AC: B73B0020
	s_nop 0                                                    // 0000000067B0: BF800000
	s_cmp_lt_i32 s59, s58                                      // 0000000067B4: BF043A3B
	v_mfma_f32_16x16x16_f16 v[152:155], v[74:75], a[70:71], v[152:155]// 0000000067B8: D3CD0098 16628D4A
	s_cbranch_scc0 label_0EAE                                  // 0000000067C0: BF84042B
	s_waitcnt lgkmcnt(0)                                       // 0000000067C4: BF8CC07F
	s_barrier                                                  // 0000000067C8: BF8A0000
	v_mfma_f32_16x16x16_f16 v[52:55], a[96:97], a[0:1], 0      // 0000000067CC: D3CD0034 1A020160
	ds_write_b32 v13, v44 offset:8704                          // 0000000067D4: D81A2200 00002C0D
	ds_write_b32 v13, v45 offset:9760                          // 0000000067DC: D81A2620 00002D0D
	v_mfma_f32_16x16x16_f16 v[52:55], a[98:99], a[2:3], v[52:55]// 0000000067E4: D3CD0034 1CD20562
	v_mul_f32_e32 v148, s47, v148                              // 0000000067EC: 0B29282F
	v_mul_f32_e32 v149, s47, v149                              // 0000000067F0: 0B2B2A2F
	v_mfma_f32_16x16x16_f16 v[52:55], a[100:101], a[4:5], v[52:55]// 0000000067F4: D3CD0034 1CD20964
	ds_write_b32 v13, v46 offset:10880                         // 0000000067FC: D81A2A80 00002E0D
	ds_write_b32 v13, v47 offset:11936                         // 000000006804: D81A2EA0 00002F0D
	v_mfma_f32_16x16x16_f16 v[52:55], a[102:103], a[6:7], v[52:55]// 00000000680C: D3CD0034 1CD20D66
	v_mul_f32_e32 v150, s47, v150                              // 000000006814: 0B2D2C2F
	v_mul_f32_e32 v151, s47, v151                              // 000000006818: 0B2F2E2F
	v_mfma_f32_16x16x16_f16 v[56:59], a[96:97], a[8:9], 0      // 00000000681C: D3CD0038 1A021160
	ds_write_b64 v22, v[148:149] offset:31232                  // 000000006824: D89A7A00 00009416
	v_mfma_f32_16x16x16_f16 v[56:59], a[98:99], a[10:11], v[56:59]// 00000000682C: D3CD0038 1CE21562
	v_mul_f32_e32 v152, s47, v152                              // 000000006834: 0B31302F
	v_mul_f32_e32 v153, s47, v153                              // 000000006838: 0B33322F
	v_mfma_f32_16x16x16_f16 v[56:59], a[100:101], a[12:13], v[56:59]// 00000000683C: D3CD0038 1CE21964
	ds_write_b64 v22, v[150:151] offset:31744                  // 000000006844: D89A7C00 00009616
	v_mfma_f32_16x16x16_f16 v[56:59], a[102:103], a[14:15], v[56:59]// 00000000684C: D3CD0038 1CE21D66
	v_mul_f32_e32 v154, s47, v154                              // 000000006854: 0B35342F
	v_mul_f32_e32 v155, s47, v155                              // 000000006858: 0B37362F
	v_mfma_f32_16x16x16_f16 v[60:63], a[96:97], a[16:17], 0    // 00000000685C: D3CD003C 1A022160
	ds_write_b64 v22, v[152:153] offset:32256                  // 000000006864: D89A7E00 00009816
	v_mfma_f32_16x16x16_f16 v[60:63], a[98:99], a[18:19], v[60:63]// 00000000686C: D3CD003C 1CF22562
	buffer_atomic_add_f32 v160, v8, s[32:35], 0 idxen          // 000000006874: E1342000 8008A008
	v_mfma_f32_16x16x16_f16 v[60:63], a[100:101], a[20:21], v[60:63]// 00000000687C: D3CD003C 1CF22964
	ds_write_b64 v22, v[154:155] offset:32768                  // 000000006884: D89A8000 00009A16
	v_mfma_f32_16x16x16_f16 v[60:63], a[102:103], a[22:23], v[60:63]// 00000000688C: D3CD003C 1CF22D66
	v_mfma_f32_16x16x16_f16 v[64:67], a[104:105], a[0:1], 0    // 000000006894: D3CD0040 1A020168
	ds_read_b128 v[124:127], v14 offset:13056                  // 00000000689C: D9FE3300 7C00000E
	ds_write_b32 v13, v36                                      // 0000000068A4: D81A0000 0000240D
	v_mfma_f32_16x16x16_f16 v[64:67], a[106:107], a[2:3], v[64:67]// 0000000068AC: D3CD0040 1D02056A
	buffer_atomic_add_f32 v161, v9, s[32:35], 0 idxen          // 0000000068B4: E1342000 8008A109
	v_mfma_f32_16x16x16_f16 v[64:67], a[108:109], a[4:5], v[64:67]// 0000000068BC: D3CD0040 1D02096C
	v_mfma_f32_16x16x16_f16 v[64:67], a[110:111], a[6:7], v[64:67]// 0000000068C4: D3CD0040 1D020D6E
	ds_read_b128 v[128:131], v14 offset:13568                  // 0000000068CC: D9FE3500 8000000E
	ds_write_b32 v13, v37 offset:1056                          // 0000000068D4: D81A0420 0000250D
	v_mfma_f32_16x16x16_f16 v[68:71], a[104:105], a[8:9], 0    // 0000000068DC: D3CD0044 1A021168
	buffer_atomic_add_f32 v162, v8, s[32:35], 0 idxen offset:128// 0000000068E4: E1342080 8008A208
	v_mfma_f32_16x16x16_f16 v[68:71], a[106:107], a[10:11], v[68:71]// 0000000068EC: D3CD0044 1D12156A
	v_mfma_f32_16x16x16_f16 v[68:71], a[108:109], a[12:13], v[68:71]// 0000000068F4: D3CD0044 1D12196C
	ds_read_b128 v[132:135], v14 offset:15232                  // 0000000068FC: D9FE3B80 8400000E
	ds_write_b32 v13, v38 offset:2176                          // 000000006904: D81A0880 0000260D
	v_mfma_f32_16x16x16_f16 v[68:71], a[110:111], a[14:15], v[68:71]// 00000000690C: D3CD0044 1D121D6E
	v_mfma_f32_16x16x16_f16 v[72:75], a[104:105], a[16:17], 0  // 000000006914: D3CD0048 1A022168
	buffer_atomic_add_f32 v163, v9, s[32:35], 0 idxen offset:128// 00000000691C: E1342080 8008A309
	v_mfma_f32_16x16x16_f16 v[72:75], a[106:107], a[18:19], v[72:75]// 000000006924: D3CD0048 1D22256A
	ds_read_b128 v[136:139], v14 offset:15744                  // 00000000692C: D9FE3D80 8800000E
	ds_write_b32 v13, v39 offset:3232                          // 000000006934: D81A0CA0 0000270D
	v_mfma_f32_16x16x16_f16 v[72:75], a[108:109], a[20:21], v[72:75]// 00000000693C: D3CD0048 1D22296C
	v_mfma_f32_16x16x16_f16 v[72:75], a[110:111], a[22:23], v[72:75]// 000000006944: D3CD0048 1D222D6E
	s_cmp_lt_i32 s74, 12                                       // 00000000694C: BF048C4A
	s_cbranch_scc0 label_0BC4                                  // 000000006950: BF8400E6
	s_mov_b32 s60, 0xffe0fffe                                  // 000000006954: BEBC00FF FFE0FFFE
	s_mov_b32 s61, 0xe000fe00                                  // 00000000695C: BEBD00FF E000FE00
	s_nop 0                                                    // 000000006964: BF800000
	s_add_u32 s62, 0, s46                                      // 000000006968: 803E2E80
	s_cmp_lt_i32 s74, s62                                      // 00000000696C: BF043E4A
	s_cbranch_scc1 label_0B0E                                  // 000000006970: BF850028
	s_cmp_eq_i32 s74, s62                                      // 000000006974: BF003E4A
	s_cbranch_scc1 label_0AF3                                  // 000000006978: BF85000B
	s_add_u32 s62, 4, s46                                      // 00000000697C: 803E2E84
	s_cmp_lt_i32 s74, s62                                      // 000000006980: BF043E4A
	s_cbranch_scc1 label_0B2E                                  // 000000006984: BF850043
	s_cmp_eq_i32 s74, s62                                      // 000000006988: BF003E4A
	s_cbranch_scc1 label_0B13                                  // 00000000698C: BF850026
	s_add_u32 s62, 8, s46                                      // 000000006990: 803E2E88
	s_cmp_lt_i32 s74, s62                                      // 000000006994: BF043E4A
	s_cbranch_scc1 label_0B4E                                  // 000000006998: BF85005E
	s_cmp_eq_i32 s74, s62                                      // 00000000699C: BF003E4A
	s_cbranch_scc1 label_0B33                                  // 0000000069A0: BF850041
	s_branch label_0B53                                        // 0000000069A4: BF820060

00000000000069a8 <label_0AF3>:
	v_cndmask_b32_e64 v52, v52, v178, s[60:61]                 // 0000000069A8: D1000034 00F36534
	s_lshl_b32 s60, s60, 1                                     // 0000000069B0: 8E3C813C
	s_lshl_b32 s61, s61, 1                                     // 0000000069B4: 8E3D813D
	s_and_b32 s60, 0xfffeffff, s60                             // 0000000069B8: 863C3CFF FFFEFFFF
	s_and_b32 s61, 0xfffeffff, s61                             // 0000000069C0: 863D3DFF FFFEFFFF
	v_cndmask_b32_e64 v53, v53, v178, s[60:61]                 // 0000000069C8: D1000035 00F36535
	s_lshl_b32 s60, s60, 1                                     // 0000000069D0: 8E3C813C
	s_lshl_b32 s61, s61, 1                                     // 0000000069D4: 8E3D813D
	s_and_b32 s60, 0xfffeffff, s60                             // 0000000069D8: 863C3CFF FFFEFFFF
	s_and_b32 s61, 0xfffeffff, s61                             // 0000000069E0: 863D3DFF FFFEFFFF
	v_cndmask_b32_e64 v54, v54, v178, s[60:61]                 // 0000000069E8: D1000036 00F36536
	s_lshl_b32 s60, s60, 1                                     // 0000000069F0: 8E3C813C
	s_lshl_b32 s61, s61, 1                                     // 0000000069F4: 8E3D813D
	s_and_b32 s60, 0xfffeffff, s60                             // 0000000069F8: 863C3CFF FFFEFFFF
	s_and_b32 s61, 0xfffeffff, s61                             // 000000006A00: 863D3DFF FFFEFFFF
	v_cndmask_b32_e64 v55, v55, v178, s[60:61]                 // 000000006A08: D1000037 00F36537
	s_branch label_0B2E                                        // 000000006A10: BF820020

0000000000006a14 <label_0B0E>:
	v_mov_b32_e32 v52, v178                                    // 000000006A14: 7E6803B2
	v_mov_b32_e32 v53, v178                                    // 000000006A18: 7E6A03B2
	v_mov_b32_e32 v54, v178                                    // 000000006A1C: 7E6C03B2
	v_mov_b32_e32 v55, v178                                    // 000000006A20: 7E6E03B2
	s_branch label_0B2E                                        // 000000006A24: BF82001B

0000000000006a28 <label_0B13>:
	v_cndmask_b32_e64 v56, v56, v178, s[60:61]                 // 000000006A28: D1000038 00F36538
	s_lshl_b32 s60, s60, 1                                     // 000000006A30: 8E3C813C
	s_lshl_b32 s61, s61, 1                                     // 000000006A34: 8E3D813D
	s_and_b32 s60, 0xfffeffff, s60                             // 000000006A38: 863C3CFF FFFEFFFF
	s_and_b32 s61, 0xfffeffff, s61                             // 000000006A40: 863D3DFF FFFEFFFF
	v_cndmask_b32_e64 v57, v57, v178, s[60:61]                 // 000000006A48: D1000039 00F36539
	s_lshl_b32 s60, s60, 1                                     // 000000006A50: 8E3C813C
	s_lshl_b32 s61, s61, 1                                     // 000000006A54: 8E3D813D
	s_and_b32 s60, 0xfffeffff, s60                             // 000000006A58: 863C3CFF FFFEFFFF
	s_and_b32 s61, 0xfffeffff, s61                             // 000000006A60: 863D3DFF FFFEFFFF
	v_cndmask_b32_e64 v58, v58, v178, s[60:61]                 // 000000006A68: D100003A 00F3653A
	s_lshl_b32 s60, s60, 1                                     // 000000006A70: 8E3C813C
	s_lshl_b32 s61, s61, 1                                     // 000000006A74: 8E3D813D
	s_and_b32 s60, 0xfffeffff, s60                             // 000000006A78: 863C3CFF FFFEFFFF
	s_and_b32 s61, 0xfffeffff, s61                             // 000000006A80: 863D3DFF FFFEFFFF
	v_cndmask_b32_e64 v59, v59, v178, s[60:61]                 // 000000006A88: D100003B 00F3653B
	s_branch label_0B4E                                        // 000000006A90: BF820020

0000000000006a94 <label_0B2E>:
	v_mov_b32_e32 v56, v178                                    // 000000006A94: 7E7003B2
	v_mov_b32_e32 v57, v178                                    // 000000006A98: 7E7203B2
	v_mov_b32_e32 v58, v178                                    // 000000006A9C: 7E7403B2
	v_mov_b32_e32 v59, v178                                    // 000000006AA0: 7E7603B2
	s_branch label_0B4E                                        // 000000006AA4: BF82001B

0000000000006aa8 <label_0B33>:
	v_cndmask_b32_e64 v60, v60, v178, s[60:61]                 // 000000006AA8: D100003C 00F3653C
	s_lshl_b32 s60, s60, 1                                     // 000000006AB0: 8E3C813C
	s_lshl_b32 s61, s61, 1                                     // 000000006AB4: 8E3D813D
	s_and_b32 s60, 0xfffeffff, s60                             // 000000006AB8: 863C3CFF FFFEFFFF
	s_and_b32 s61, 0xfffeffff, s61                             // 000000006AC0: 863D3DFF FFFEFFFF
	v_cndmask_b32_e64 v61, v61, v178, s[60:61]                 // 000000006AC8: D100003D 00F3653D
	s_lshl_b32 s60, s60, 1                                     // 000000006AD0: 8E3C813C
	s_lshl_b32 s61, s61, 1                                     // 000000006AD4: 8E3D813D
	s_and_b32 s60, 0xfffeffff, s60                             // 000000006AD8: 863C3CFF FFFEFFFF
	s_and_b32 s61, 0xfffeffff, s61                             // 000000006AE0: 863D3DFF FFFEFFFF
	v_cndmask_b32_e64 v62, v62, v178, s[60:61]                 // 000000006AE8: D100003E 00F3653E
	s_lshl_b32 s60, s60, 1                                     // 000000006AF0: 8E3C813C
	s_lshl_b32 s61, s61, 1                                     // 000000006AF4: 8E3D813D
	s_and_b32 s60, 0xfffeffff, s60                             // 000000006AF8: 863C3CFF FFFEFFFF
	s_and_b32 s61, 0xfffeffff, s61                             // 000000006B00: 863D3DFF FFFEFFFF
	v_cndmask_b32_e64 v63, v63, v178, s[60:61]                 // 000000006B08: D100003F 00F3653F
	s_branch label_0B53                                        // 000000006B10: BF820005

0000000000006b14 <label_0B4E>:
	v_mov_b32_e32 v60, v178                                    // 000000006B14: 7E7803B2
	v_mov_b32_e32 v61, v178                                    // 000000006B18: 7E7A03B2
	v_mov_b32_e32 v62, v178                                    // 000000006B1C: 7E7C03B2
	v_mov_b32_e32 v63, v178                                    // 000000006B20: 7E7E03B2
	s_branch label_0B53                                        // 000000006B24: BF820000

0000000000006b28 <label_0B53>:
	s_addk_i32 s74, 0x1                                        // 000000006B28: B74A0001
	s_add_u32 s62, 0, s46                                      // 000000006B2C: 803E2E80
	s_cmp_lt_i32 s74, s62                                      // 000000006B30: BF043E4A
	s_cbranch_scc1 label_0B7F                                  // 000000006B34: BF850028
	s_cmp_eq_i32 s74, s62                                      // 000000006B38: BF003E4A
	s_cbranch_scc1 label_0B64                                  // 000000006B3C: BF85000B
	s_add_u32 s62, 4, s46                                      // 000000006B40: 803E2E84
	s_cmp_lt_i32 s74, s62                                      // 000000006B44: BF043E4A
	s_cbranch_scc1 label_0B9F                                  // 000000006B48: BF850043
	s_cmp_eq_i32 s74, s62                                      // 000000006B4C: BF003E4A
	s_cbranch_scc1 label_0B84                                  // 000000006B50: BF850026
	s_add_u32 s62, 8, s46                                      // 000000006B54: 803E2E88
	s_cmp_lt_i32 s74, s62                                      // 000000006B58: BF043E4A
	s_cbranch_scc1 label_0BBF                                  // 000000006B5C: BF85005E
	s_cmp_eq_i32 s74, s62                                      // 000000006B60: BF003E4A
	s_cbranch_scc1 label_0BA4                                  // 000000006B64: BF850041
	s_branch label_0BC4                                        // 000000006B68: BF820060

0000000000006b6c <label_0B64>:
	v_cndmask_b32_e64 v64, v64, v178, s[60:61]                 // 000000006B6C: D1000040 00F36540
	s_lshl_b32 s60, s60, 1                                     // 000000006B74: 8E3C813C
	s_lshl_b32 s61, s61, 1                                     // 000000006B78: 8E3D813D
	s_and_b32 s60, 0xfffeffff, s60                             // 000000006B7C: 863C3CFF FFFEFFFF
	s_and_b32 s61, 0xfffeffff, s61                             // 000000006B84: 863D3DFF FFFEFFFF
	v_cndmask_b32_e64 v65, v65, v178, s[60:61]                 // 000000006B8C: D1000041 00F36541
	s_lshl_b32 s60, s60, 1                                     // 000000006B94: 8E3C813C
	s_lshl_b32 s61, s61, 1                                     // 000000006B98: 8E3D813D
	s_and_b32 s60, 0xfffeffff, s60                             // 000000006B9C: 863C3CFF FFFEFFFF
	s_and_b32 s61, 0xfffeffff, s61                             // 000000006BA4: 863D3DFF FFFEFFFF
	v_cndmask_b32_e64 v66, v66, v178, s[60:61]                 // 000000006BAC: D1000042 00F36542
	s_lshl_b32 s60, s60, 1                                     // 000000006BB4: 8E3C813C
	s_lshl_b32 s61, s61, 1                                     // 000000006BB8: 8E3D813D
	s_and_b32 s60, 0xfffeffff, s60                             // 000000006BBC: 863C3CFF FFFEFFFF
	s_and_b32 s61, 0xfffeffff, s61                             // 000000006BC4: 863D3DFF FFFEFFFF
	v_cndmask_b32_e64 v67, v67, v178, s[60:61]                 // 000000006BCC: D1000043 00F36543
	s_branch label_0B9F                                        // 000000006BD4: BF820020

0000000000006bd8 <label_0B7F>:
	v_mov_b32_e32 v64, v178                                    // 000000006BD8: 7E8003B2
	v_mov_b32_e32 v65, v178                                    // 000000006BDC: 7E8203B2
	v_mov_b32_e32 v66, v178                                    // 000000006BE0: 7E8403B2
	v_mov_b32_e32 v67, v178                                    // 000000006BE4: 7E8603B2
	s_branch label_0B9F                                        // 000000006BE8: BF82001B

0000000000006bec <label_0B84>:
	v_cndmask_b32_e64 v68, v68, v178, s[60:61]                 // 000000006BEC: D1000044 00F36544
	s_lshl_b32 s60, s60, 1                                     // 000000006BF4: 8E3C813C
	s_lshl_b32 s61, s61, 1                                     // 000000006BF8: 8E3D813D
	s_and_b32 s60, 0xfffeffff, s60                             // 000000006BFC: 863C3CFF FFFEFFFF
	s_and_b32 s61, 0xfffeffff, s61                             // 000000006C04: 863D3DFF FFFEFFFF
	v_cndmask_b32_e64 v69, v69, v178, s[60:61]                 // 000000006C0C: D1000045 00F36545
	s_lshl_b32 s60, s60, 1                                     // 000000006C14: 8E3C813C
	s_lshl_b32 s61, s61, 1                                     // 000000006C18: 8E3D813D
	s_and_b32 s60, 0xfffeffff, s60                             // 000000006C1C: 863C3CFF FFFEFFFF
	s_and_b32 s61, 0xfffeffff, s61                             // 000000006C24: 863D3DFF FFFEFFFF
	v_cndmask_b32_e64 v70, v70, v178, s[60:61]                 // 000000006C2C: D1000046 00F36546
	s_lshl_b32 s60, s60, 1                                     // 000000006C34: 8E3C813C
	s_lshl_b32 s61, s61, 1                                     // 000000006C38: 8E3D813D
	s_and_b32 s60, 0xfffeffff, s60                             // 000000006C3C: 863C3CFF FFFEFFFF
	s_and_b32 s61, 0xfffeffff, s61                             // 000000006C44: 863D3DFF FFFEFFFF
	v_cndmask_b32_e64 v71, v71, v178, s[60:61]                 // 000000006C4C: D1000047 00F36547
	s_branch label_0BBF                                        // 000000006C54: BF820020

0000000000006c58 <label_0B9F>:
	v_mov_b32_e32 v68, v178                                    // 000000006C58: 7E8803B2
	v_mov_b32_e32 v69, v178                                    // 000000006C5C: 7E8A03B2
	v_mov_b32_e32 v70, v178                                    // 000000006C60: 7E8C03B2
	v_mov_b32_e32 v71, v178                                    // 000000006C64: 7E8E03B2
	s_branch label_0BBF                                        // 000000006C68: BF82001B

0000000000006c6c <label_0BA4>:
	v_cndmask_b32_e64 v72, v72, v178, s[60:61]                 // 000000006C6C: D1000048 00F36548
	s_lshl_b32 s60, s60, 1                                     // 000000006C74: 8E3C813C
	s_lshl_b32 s61, s61, 1                                     // 000000006C78: 8E3D813D
	s_and_b32 s60, 0xfffeffff, s60                             // 000000006C7C: 863C3CFF FFFEFFFF
	s_and_b32 s61, 0xfffeffff, s61                             // 000000006C84: 863D3DFF FFFEFFFF
	v_cndmask_b32_e64 v73, v73, v178, s[60:61]                 // 000000006C8C: D1000049 00F36549
	s_lshl_b32 s60, s60, 1                                     // 000000006C94: 8E3C813C
	s_lshl_b32 s61, s61, 1                                     // 000000006C98: 8E3D813D
	s_and_b32 s60, 0xfffeffff, s60                             // 000000006C9C: 863C3CFF FFFEFFFF
	s_and_b32 s61, 0xfffeffff, s61                             // 000000006CA4: 863D3DFF FFFEFFFF
	v_cndmask_b32_e64 v74, v74, v178, s[60:61]                 // 000000006CAC: D100004A 00F3654A
	s_lshl_b32 s60, s60, 1                                     // 000000006CB4: 8E3C813C
	s_lshl_b32 s61, s61, 1                                     // 000000006CB8: 8E3D813D
	s_and_b32 s60, 0xfffeffff, s60                             // 000000006CBC: 863C3CFF FFFEFFFF
	s_and_b32 s61, 0xfffeffff, s61                             // 000000006CC4: 863D3DFF FFFEFFFF
	v_cndmask_b32_e64 v75, v75, v178, s[60:61]                 // 000000006CCC: D100004B 00F3654B
	s_branch label_0BC4                                        // 000000006CD4: BF820005

0000000000006cd8 <label_0BBF>:
	v_mov_b32_e32 v72, v178                                    // 000000006CD8: 7E9003B2
	v_mov_b32_e32 v73, v178                                    // 000000006CDC: 7E9203B2
	v_mov_b32_e32 v74, v178                                    // 000000006CE0: 7E9403B2
	v_mov_b32_e32 v75, v178                                    // 000000006CE4: 7E9603B2
	s_branch label_0BC4                                        // 000000006CE8: BF820000

0000000000006cec <label_0BC4>:
	s_cmp_lt_i32 s101, 0xc0                                    // 000000006CEC: BF04FF65 000000C0
	s_cbranch_scc0 label_0C3D                                  // 000000006CF4: BF84006D
	s_cmp_le_i32 s101, 64                                      // 000000006CF8: BF05C065
	s_cbranch_scc1 label_0BD0                                  // 000000006CFC: BF850007
	s_cmp_le_i32 s101, 0x80                                    // 000000006D00: BF05FF65 00000080
	s_cbranch_scc1 label_0BF4                                  // 000000006D08: BF85001F
	s_cmp_lt_i32 s101, 0xc0                                    // 000000006D0C: BF04FF65 000000C0
	s_cbranch_scc1 label_0C18                                  // 000000006D14: BF850040
	s_branch label_0C3D                                        // 000000006D18: BF820064

0000000000006d1c <label_0BD0>:
	s_mov_b32 s60, 0                                           // 000000006D1C: BEBC0080
	v_and_b32_e32 v32, 15, v0                                  // 000000006D20: 2640008F
	v_add_u32_e64 v32, v32, s60                                // 000000006D24: D1340020 00007920
	v_mul_i32_i24_e64 v33, s46, 16                             // 000000006D2C: D1060021 0001202E
	v_add_u32_e32 v32, v32, v33                                // 000000006D34: 68404320
	v_cmp_lt_u32_e64 s[60:61], v32, s101                       // 000000006D38: D0C9003C 0000CB20
	s_nop 1                                                    // 000000006D40: BF800001
	v_cndmask_b32_e64 v52, v178, v52, s[60:61]                 // 000000006D44: D1000034 00F269B2
	v_cndmask_b32_e64 v64, v178, v64, s[60:61]                 // 000000006D4C: D1000040 00F281B2
	v_cndmask_b32_e64 v53, v178, v53, s[60:61]                 // 000000006D54: D1000035 00F26BB2
	v_cndmask_b32_e64 v65, v178, v65, s[60:61]                 // 000000006D5C: D1000041 00F283B2
	v_cndmask_b32_e64 v54, v178, v54, s[60:61]                 // 000000006D64: D1000036 00F26DB2
	v_cndmask_b32_e64 v66, v178, v66, s[60:61]                 // 000000006D6C: D1000042 00F285B2
	v_cndmask_b32_e64 v55, v178, v55, s[60:61]                 // 000000006D74: D1000037 00F26FB2
	v_cndmask_b32_e64 v67, v178, v67, s[60:61]                 // 000000006D7C: D1000043 00F287B2
	s_branch label_0C0F                                        // 000000006D84: BF82001B

0000000000006d88 <label_0BF4>:
	s_mov_b32 s60, 64                                          // 000000006D88: BEBC00C0
	v_and_b32_e32 v32, 15, v0                                  // 000000006D8C: 2640008F
	v_add_u32_e64 v32, v32, s60                                // 000000006D90: D1340020 00007920
	v_mul_i32_i24_e64 v33, s46, 16                             // 000000006D98: D1060021 0001202E
	v_add_u32_e32 v32, v32, v33                                // 000000006DA0: 68404320
	v_cmp_lt_u32_e64 s[60:61], v32, s101                       // 000000006DA4: D0C9003C 0000CB20
	s_nop 1                                                    // 000000006DAC: BF800001
	v_cndmask_b32_e64 v56, v178, v56, s[60:61]                 // 000000006DB0: D1000038 00F271B2
	v_cndmask_b32_e64 v68, v178, v68, s[60:61]                 // 000000006DB8: D1000044 00F289B2
	v_cndmask_b32_e64 v57, v178, v57, s[60:61]                 // 000000006DC0: D1000039 00F273B2
	v_cndmask_b32_e64 v69, v178, v69, s[60:61]                 // 000000006DC8: D1000045 00F28BB2
	v_cndmask_b32_e64 v58, v178, v58, s[60:61]                 // 000000006DD0: D100003A 00F275B2
	v_cndmask_b32_e64 v70, v178, v70, s[60:61]                 // 000000006DD8: D1000046 00F28DB2
	v_cndmask_b32_e64 v59, v178, v59, s[60:61]                 // 000000006DE0: D100003B 00F277B2
	v_cndmask_b32_e64 v71, v178, v71, s[60:61]                 // 000000006DE8: D1000047 00F28FB2
	s_branch label_0C34                                        // 000000006DF0: BF820025

0000000000006df4 <label_0C0F>:
	v_mov_b32_e32 v56, v178                                    // 000000006DF4: 7E7003B2
	v_mov_b32_e32 v68, v178                                    // 000000006DF8: 7E8803B2
	v_mov_b32_e32 v57, v178                                    // 000000006DFC: 7E7203B2
	v_mov_b32_e32 v69, v178                                    // 000000006E00: 7E8A03B2
	v_mov_b32_e32 v58, v178                                    // 000000006E04: 7E7403B2
	v_mov_b32_e32 v70, v178                                    // 000000006E08: 7E8C03B2
	v_mov_b32_e32 v59, v178                                    // 000000006E0C: 7E7603B2
	v_mov_b32_e32 v71, v178                                    // 000000006E10: 7E8E03B2
	s_branch label_0C34                                        // 000000006E14: BF82001C

0000000000006e18 <label_0C18>:
	s_mov_b32 s60, 0x80                                        // 000000006E18: BEBC00FF 00000080
	v_and_b32_e32 v32, 15, v0                                  // 000000006E20: 2640008F
	v_add_u32_e64 v32, v32, s60                                // 000000006E24: D1340020 00007920
	v_mul_i32_i24_e64 v33, s46, 16                             // 000000006E2C: D1060021 0001202E
	v_add_u32_e32 v32, v32, v33                                // 000000006E34: 68404320
	v_cmp_lt_u32_e64 s[60:61], v32, s101                       // 000000006E38: D0C9003C 0000CB20
	s_nop 1                                                    // 000000006E40: BF800001
	v_cndmask_b32_e64 v60, v178, v60, s[60:61]                 // 000000006E44: D100003C 00F279B2
	v_cndmask_b32_e64 v72, v178, v72, s[60:61]                 // 000000006E4C: D1000048 00F291B2
	v_cndmask_b32_e64 v61, v178, v61, s[60:61]                 // 000000006E54: D100003D 00F27BB2
	v_cndmask_b32_e64 v73, v178, v73, s[60:61]                 // 000000006E5C: D1000049 00F293B2
	v_cndmask_b32_e64 v62, v178, v62, s[60:61]                 // 000000006E64: D100003E 00F27DB2
	v_cndmask_b32_e64 v74, v178, v74, s[60:61]                 // 000000006E6C: D100004A 00F295B2
	v_cndmask_b32_e64 v63, v178, v63, s[60:61]                 // 000000006E74: D100003F 00F27FB2
	v_cndmask_b32_e64 v75, v178, v75, s[60:61]                 // 000000006E7C: D100004B 00F297B2
	s_branch label_0C3D                                        // 000000006E84: BF820009

0000000000006e88 <label_0C34>:
	v_mov_b32_e32 v60, v178                                    // 000000006E88: 7E7803B2
	v_mov_b32_e32 v72, v178                                    // 000000006E8C: 7E9003B2
	v_mov_b32_e32 v61, v178                                    // 000000006E90: 7E7A03B2
	v_mov_b32_e32 v73, v178                                    // 000000006E94: 7E9203B2
	v_mov_b32_e32 v62, v178                                    // 000000006E98: 7E7C03B2
	v_mov_b32_e32 v74, v178                                    // 000000006E9C: 7E9403B2
	v_mov_b32_e32 v63, v178                                    // 000000006EA0: 7E7E03B2
	v_mov_b32_e32 v75, v178                                    // 000000006EA4: 7E9603B2
	s_branch label_0C3D                                        // 000000006EA8: BF820000

0000000000006eac <label_0C3D>:
	s_addk_i32 s74, 0x1                                        // 000000006EAC: B74A0001
	s_waitcnt lgkmcnt(8)                                       // 000000006EB0: BF8CC87F
	s_barrier                                                  // 000000006EB4: BF8A0000
	v_mfma_f32_16x16x16_f16 v[76:79], v[108:109], a[72:73], 0  // 000000006EB8: D3CD004C 1202916C
	ds_read_b128 a[96:99], v14 offset:4352                     // 000000006EC0: DBFE1100 6000000E
	ds_read_b128 a[100:103], v14 offset:4864                   // 000000006EC8: DBFE1300 6400000E
	v_mfma_f32_16x16x16_f16 v[76:79], v[110:111], a[74:75], v[76:79]// 000000006ED0: D3CD004C 1532956E
	v_fma_f32 v52, v52, s57, -v140                             // 000000006ED8: D1CB0034 86307334
	v_fma_f32 v53, v53, s57, -v141                             // 000000006EE0: D1CB0035 86347335
	v_fma_f32 v54, v54, s57, -v142                             // 000000006EE8: D1CB0036 86387336
	v_fma_f32 v55, v55, s57, -v143                             // 000000006EF0: D1CB0037 863C7337
	v_fma_f32 v56, v56, s57, -v140                             // 000000006EF8: D1CB0038 86307338
	v_fma_f32 v57, v57, s57, -v141                             // 000000006F00: D1CB0039 86347339
	v_mfma_f32_16x16x16_f16 v[76:79], v[112:113], a[76:77], v[76:79]// 000000006F08: D3CD004C 15329970
	v_fma_f32 v58, v58, s57, -v142                             // 000000006F10: D1CB003A 8638733A
	v_fma_f32 v59, v59, s57, -v143                             // 000000006F18: D1CB003B 863C733B
	v_fma_f32 v60, v60, s57, -v140                             // 000000006F20: D1CB003C 8630733C
	v_fma_f32 v61, v61, s57, -v141                             // 000000006F28: D1CB003D 8634733D
	v_fma_f32 v62, v62, s57, -v142                             // 000000006F30: D1CB003E 8638733E
	v_fma_f32 v63, v63, s57, -v143                             // 000000006F38: D1CB003F 863C733F
	v_mfma_f32_16x16x16_f16 v[76:79], v[114:115], a[78:79], v[76:79]// 000000006F40: D3CD004C 15329D72
	v_fma_f32 v64, v64, s57, -v144                             // 000000006F48: D1CB0040 86407340
	v_fma_f32 v65, v65, s57, -v145                             // 000000006F50: D1CB0041 86447341
	v_fma_f32 v66, v66, s57, -v146                             // 000000006F58: D1CB0042 86487342
	v_fma_f32 v67, v67, s57, -v147                             // 000000006F60: D1CB0043 864C7343
	v_fma_f32 v68, v68, s57, -v144                             // 000000006F68: D1CB0044 86407344
	v_fma_f32 v69, v69, s57, -v145                             // 000000006F70: D1CB0045 86447345
	v_mfma_f32_16x16x16_f16 v[80:83], v[108:109], a[80:81], 0  // 000000006F78: D3CD0050 1202A16C
	ds_read_b128 a[104:107], v14 offset:6528                   // 000000006F80: DBFE1980 6800000E
	ds_read_b128 a[108:111], v14 offset:7040                   // 000000006F88: DBFE1B80 6C00000E
	v_mfma_f32_16x16x16_f16 v[80:83], v[110:111], a[82:83], v[80:83]// 000000006F90: D3CD0050 1542A56E
	v_fma_f32 v70, v70, s57, -v146                             // 000000006F98: D1CB0046 86487346
	v_fma_f32 v71, v71, s57, -v147                             // 000000006FA0: D1CB0047 864C7347
	v_fma_f32 v72, v72, s57, -v144                             // 000000006FA8: D1CB0048 86407348
	v_fma_f32 v73, v73, s57, -v145                             // 000000006FB0: D1CB0049 86447349
	v_fma_f32 v74, v74, s57, -v146                             // 000000006FB8: D1CB004A 8648734A
	v_fma_f32 v75, v75, s57, -v147                             // 000000006FC0: D1CB004B 864C734B
	v_mfma_f32_16x16x16_f16 v[80:83], v[112:113], a[84:85], v[80:83]// 000000006FC8: D3CD0050 1542A970
	v_exp_f32_e32 v52, v52                                     // 000000006FD0: 7E684134
	v_exp_f32_e32 v53, v53                                     // 000000006FD4: 7E6A4135
	v_mfma_f32_16x16x16_f16 v[80:83], v[114:115], a[86:87], v[80:83]// 000000006FD8: D3CD0050 1542AD72
	v_exp_f32_e32 v54, v54                                     // 000000006FE0: 7E6C4136
	v_exp_f32_e32 v55, v55                                     // 000000006FE4: 7E6E4137
	v_mfma_f32_16x16x16_f16 v[84:87], v[108:109], a[88:89], 0  // 000000006FE8: D3CD0054 1202B16C
	ds_read_b64 v[156:157], v21 offset:31232                   // 000000006FF0: D8EC7A00 9C000015
	ds_read_b64 v[158:159], v21 offset:33280                   // 000000006FF8: D8EC8200 9E000015
	v_mfma_f32_16x16x16_f16 v[84:87], v[110:111], a[90:91], v[84:87]// 000000007000: D3CD0054 1552B56E
	v_exp_f32_e32 v56, v56                                     // 000000007008: 7E704138
	v_exp_f32_e32 v57, v57                                     // 00000000700C: 7E724139
	v_mfma_f32_16x16x16_f16 v[84:87], v[112:113], a[92:93], v[84:87]// 000000007010: D3CD0054 1552B970
	ds_read_b64 v[160:161], v21 offset:35328                   // 000000007018: D8EC8A00 A0000015
	ds_read_b64 v[162:163], v21 offset:37376                   // 000000007020: D8EC9200 A2000015
	v_mfma_f32_16x16x16_f16 v[84:87], v[114:115], a[94:95], v[84:87]// 000000007028: D3CD0054 1552BD72
	v_exp_f32_e32 v58, v58                                     // 000000007030: 7E74413A
	v_exp_f32_e32 v59, v59                                     // 000000007034: 7E76413B
	v_mfma_f32_16x16x16_f16 v[88:91], v[116:117], a[72:73], 0  // 000000007038: D3CD0058 12029174
	v_exp_f32_e32 v60, v60                                     // 000000007040: 7E78413C
	v_exp_f32_e32 v61, v61                                     // 000000007044: 7E7A413D
	v_mfma_f32_16x16x16_f16 v[88:91], v[118:119], a[74:75], v[88:91]// 000000007048: D3CD0058 15629576
	v_exp_f32_e32 v62, v62                                     // 000000007050: 7E7C413E
	v_exp_f32_e32 v63, v63                                     // 000000007054: 7E7E413F
	v_mfma_f32_16x16x16_f16 v[88:91], v[120:121], a[76:77], v[88:91]// 000000007058: D3CD0058 15629978
	v_exp_f32_e32 v64, v64                                     // 000000007060: 7E804140
	v_exp_f32_e32 v65, v65                                     // 000000007064: 7E824141
	v_mfma_f32_16x16x16_f16 v[88:91], v[122:123], a[78:79], v[88:91]// 000000007068: D3CD0058 15629D7A
	v_exp_f32_e32 v66, v66                                     // 000000007070: 7E844142
	v_exp_f32_e32 v67, v67                                     // 000000007074: 7E864143
	v_mfma_f32_16x16x16_f16 v[92:95], v[116:117], a[80:81], 0  // 000000007078: D3CD005C 1202A174
	v_exp_f32_e32 v68, v68                                     // 000000007080: 7E884144
	v_exp_f32_e32 v69, v69                                     // 000000007084: 7E8A4145
	v_mfma_f32_16x16x16_f16 v[92:95], v[118:119], a[82:83], v[92:95]// 000000007088: D3CD005C 1572A576
	v_exp_f32_e32 v70, v70                                     // 000000007090: 7E8C4146
	v_exp_f32_e32 v71, v71                                     // 000000007094: 7E8E4147
	v_mfma_f32_16x16x16_f16 v[92:95], v[120:121], a[84:85], v[92:95]// 000000007098: D3CD005C 1572A978
	v_exp_f32_e32 v72, v72                                     // 0000000070A0: 7E904148
	v_exp_f32_e32 v73, v73                                     // 0000000070A4: 7E924149
	v_mfma_f32_16x16x16_f16 v[92:95], v[122:123], a[86:87], v[92:95]// 0000000070A8: D3CD005C 1572AD7A
	v_exp_f32_e32 v74, v74                                     // 0000000070B0: 7E94414A
	v_exp_f32_e32 v75, v75                                     // 0000000070B4: 7E96414B
	v_mfma_f32_16x16x16_f16 v[96:99], v[116:117], a[88:89], 0  // 0000000070B8: D3CD0060 1202B174
	v_cvt_pkrtz_f16_f32 v164, v52, v53                         // 0000000070C0: D29600A4 00026B34
	v_cvt_pkrtz_f16_f32 v165, v54, v55                         // 0000000070C8: D29600A5 00026F36
	v_cvt_pkrtz_f16_f32 v166, v56, v57                         // 0000000070D0: D29600A6 00027338
	v_cvt_pkrtz_f16_f32 v167, v58, v59                         // 0000000070D8: D29600A7 0002773A
	v_cvt_pkrtz_f16_f32 v168, v60, v61                         // 0000000070E0: D29600A8 00027B3C
	v_cvt_pkrtz_f16_f32 v169, v62, v63                         // 0000000070E8: D29600A9 00027F3E
	v_mfma_f32_16x16x16_f16 v[96:99], v[118:119], a[90:91], v[96:99]// 0000000070F0: D3CD0060 1582B576
	v_cvt_pkrtz_f16_f32 v170, v64, v65                         // 0000000070F8: D29600AA 00028340
	v_cvt_pkrtz_f16_f32 v171, v66, v67                         // 000000007100: D29600AB 00028742
	v_cvt_pkrtz_f16_f32 v172, v68, v69                         // 000000007108: D29600AC 00028B44
	v_cvt_pkrtz_f16_f32 v173, v70, v71                         // 000000007110: D29600AD 00028F46
	v_cvt_pkrtz_f16_f32 v174, v72, v73                         // 000000007118: D29600AE 00029348
	v_cvt_pkrtz_f16_f32 v175, v74, v75                         // 000000007120: D29600AF 0002974A
	v_mfma_f32_16x16x16_f16 v[96:99], v[120:121], a[92:93], v[96:99]// 000000007128: D3CD0060 1582B978
	v_add_u32_e32 v6, s66, v6                                  // 000000007130: 680C0C42
	v_add_u32_e32 v7, s66, v7                                  // 000000007134: 680E0E42
	v_add_u32_e32 v8, s66, v8                                  // 000000007138: 68101042
	v_add_u32_e32 v9, s66, v9                                  // 00000000713C: 68121242
	v_mfma_f32_16x16x16_f16 v[96:99], v[122:123], a[94:95], v[96:99]// 000000007140: D3CD0060 1582BD7A
	s_waitcnt lgkmcnt(0)                                       // 000000007148: BF8CC07F
	s_barrier                                                  // 00000000714C: BF8A0000
	v_mfma_f32_16x16x16_f16 v[180:183], v[124:125], v[164:165], v[180:183]// 000000007150: D3CD00B4 06D3497C
	v_subrev_f32_dpp v76, v176, v76 quad_perm:[0,0,0,0] row_mask:0xf bank_mask:0xf// 000000007158: 069898FA FF0000B0
	v_subrev_f32_dpp v77, v176, v77 quad_perm:[1,1,1,1] row_mask:0xf bank_mask:0xf// 000000007160: 069A9AFA FF0055B0
	v_subrev_f32_dpp v78, v176, v78 quad_perm:[2,2,2,2] row_mask:0xf bank_mask:0xf// 000000007168: 069C9CFA FF00AAB0
	v_subrev_f32_dpp v79, v176, v79 quad_perm:[3,3,3,3] row_mask:0xf bank_mask:0xf// 000000007170: 069E9EFA FF00FFB0
	v_subrev_f32_dpp v80, v176, v80 quad_perm:[0,0,0,0] row_mask:0xf bank_mask:0xf// 000000007178: 06A0A0FA FF0000B0
	v_subrev_f32_dpp v81, v176, v81 quad_perm:[1,1,1,1] row_mask:0xf bank_mask:0xf// 000000007180: 06A2A2FA FF0055B0
	v_mfma_f32_16x16x16_f16 v[184:187], v[126:127], v[164:165], v[184:187]// 000000007188: D3CD00B8 06E3497E
	v_subrev_f32_dpp v82, v176, v82 quad_perm:[2,2,2,2] row_mask:0xf bank_mask:0xf// 000000007190: 06A4A4FA FF00AAB0
	v_subrev_f32_dpp v83, v176, v83 quad_perm:[3,3,3,3] row_mask:0xf bank_mask:0xf// 000000007198: 06A6A6FA FF00FFB0
	v_subrev_f32_dpp v84, v176, v84 quad_perm:[0,0,0,0] row_mask:0xf bank_mask:0xf// 0000000071A0: 06A8A8FA FF0000B0
	v_subrev_f32_dpp v85, v176, v85 quad_perm:[1,1,1,1] row_mask:0xf bank_mask:0xf// 0000000071A8: 06AAAAFA FF0055B0
	v_subrev_f32_dpp v86, v176, v86 quad_perm:[2,2,2,2] row_mask:0xf bank_mask:0xf// 0000000071B0: 06ACACFA FF00AAB0
	v_subrev_f32_dpp v87, v176, v87 quad_perm:[3,3,3,3] row_mask:0xf bank_mask:0xf// 0000000071B8: 06AEAEFA FF00FFB0
	v_mfma_f32_16x16x16_f16 v[188:191], v[128:129], v[164:165], v[188:191]// 0000000071C0: D3CD00BC 06F34980
	v_mul_f32_e32 v76, v52, v76                                // 0000000071C8: 0A989934
	v_mul_f32_e32 v77, v53, v77                                // 0000000071CC: 0A9A9B35
	v_mul_f32_e32 v78, v54, v78                                // 0000000071D0: 0A9C9D36
	v_mul_f32_e32 v79, v55, v79                                // 0000000071D4: 0A9E9F37
	v_mul_f32_e32 v80, v56, v80                                // 0000000071D8: 0AA0A138
	v_mul_f32_e32 v81, v57, v81                                // 0000000071DC: 0AA2A339
	v_mfma_f32_16x16x16_f16 v[192:195], v[130:131], v[164:165], v[192:195]// 0000000071E0: D3CD00C0 07034982
	v_mul_f32_e32 v82, v58, v82                                // 0000000071E8: 0AA4A53A
	v_mul_f32_e32 v83, v59, v83                                // 0000000071EC: 0AA6A73B
	v_mul_f32_e32 v84, v60, v84                                // 0000000071F0: 0AA8A93C
	v_mul_f32_e32 v85, v61, v85                                // 0000000071F4: 0AAAAB3D
	v_mul_f32_e32 v86, v62, v86                                // 0000000071F8: 0AACAD3E
	v_mul_f32_e32 v87, v63, v87                                // 0000000071FC: 0AAEAF3F
	v_mfma_f32_16x16x16_f16 v[196:199], v[124:125], v[166:167], v[196:199]// 000000007200: D3CD00C4 07134D7C
	v_cvt_pkrtz_f16_f32 v76, v76, v77                          // 000000007208: D296004C 00029B4C
	v_cvt_pkrtz_f16_f32 v77, v78, v79                          // 000000007210: D296004D 00029F4E
	v_cvt_pkrtz_f16_f32 v78, v80, v81                          // 000000007218: D296004E 0002A350
	v_cvt_pkrtz_f16_f32 v79, v82, v83                          // 000000007220: D296004F 0002A752
	v_cvt_pkrtz_f16_f32 v80, v84, v85                          // 000000007228: D2960050 0002AB54
	v_cvt_pkrtz_f16_f32 v81, v86, v87                          // 000000007230: D2960051 0002AF56
	v_mfma_f32_16x16x16_f16 v[200:203], v[126:127], v[166:167], v[200:203]// 000000007238: D3CD00C8 07234D7E
	v_mov_b32_dpp v18, v76 quad_perm:[1,0,3,2] row_mask:0xf bank_mask:0xf// 000000007240: 7E2402FA FF00B14C
	v_perm_b32 v52, v18, v76, v17                              // 000000007248: D1ED0034 04469912
	v_mov_b32_dpp v18, v77 quad_perm:[1,0,3,2] row_mask:0xf bank_mask:0xf// 000000007250: 7E2402FA FF00B14D
	v_perm_b32 v53, v18, v77, v17                              // 000000007258: D1ED0035 04469B12
	v_mov_b32_dpp v18, v78 quad_perm:[1,0,3,2] row_mask:0xf bank_mask:0xf// 000000007260: 7E2402FA FF00B14E
	v_perm_b32 v54, v18, v78, v17                              // 000000007268: D1ED0036 04469D12
	v_mfma_f32_16x16x16_f16 v[204:207], v[128:129], v[166:167], v[204:207]// 000000007270: D3CD00CC 07334D80
	v_mov_b32_dpp v18, v79 quad_perm:[1,0,3,2] row_mask:0xf bank_mask:0xf// 000000007278: 7E2402FA FF00B14F
	v_perm_b32 v55, v18, v79, v17                              // 000000007280: D1ED0037 04469F12
	v_mov_b32_dpp v18, v80 quad_perm:[1,0,3,2] row_mask:0xf bank_mask:0xf// 000000007288: 7E2402FA FF00B150
	v_perm_b32 v56, v18, v80, v17                              // 000000007290: D1ED0038 0446A112
	v_mov_b32_dpp v18, v81 quad_perm:[1,0,3,2] row_mask:0xf bank_mask:0xf// 000000007298: 7E2402FA FF00B151
	v_perm_b32 v57, v18, v81, v17                              // 0000000072A0: D1ED0039 0446A312
	v_mfma_f32_16x16x16_f16 v[208:211], v[130:131], v[166:167], v[208:211]// 0000000072A8: D3CD00D0 07434D82
	ds_write_b32 v20, v52 offset:17408                         // 0000000072B0: D81A4400 00003414
	ds_write_b32 v20, v53 offset:17952                         // 0000000072B8: D81A4620 00003514
	v_mfma_f32_16x16x16_f16 v[212:215], v[124:125], v[168:169], v[212:215]// 0000000072C0: D3CD00D4 0753517C
	v_subrev_f32_dpp v88, v177, v88 quad_perm:[0,0,0,0] row_mask:0xf bank_mask:0xf// 0000000072C8: 06B0B0FA FF0000B1
	v_subrev_f32_dpp v89, v177, v89 quad_perm:[1,1,1,1] row_mask:0xf bank_mask:0xf// 0000000072D0: 06B2B2FA FF0055B1
	v_subrev_f32_dpp v90, v177, v90 quad_perm:[2,2,2,2] row_mask:0xf bank_mask:0xf// 0000000072D8: 06B4B4FA FF00AAB1
	v_subrev_f32_dpp v91, v177, v91 quad_perm:[3,3,3,3] row_mask:0xf bank_mask:0xf// 0000000072E0: 06B6B6FA FF00FFB1
	v_subrev_f32_dpp v92, v177, v92 quad_perm:[0,0,0,0] row_mask:0xf bank_mask:0xf// 0000000072E8: 06B8B8FA FF0000B1
	v_subrev_f32_dpp v93, v177, v93 quad_perm:[1,1,1,1] row_mask:0xf bank_mask:0xf// 0000000072F0: 06BABAFA FF0055B1
	v_mfma_f32_16x16x16_f16 v[216:219], v[126:127], v[168:169], v[216:219]// 0000000072F8: D3CD00D8 0763517E
	ds_write_b32 v20, v54 offset:19712                         // 000000007300: D81A4D00 00003614
	ds_write_b32 v20, v55 offset:20256                         // 000000007308: D81A4F20 00003714
	v_mfma_f32_16x16x16_f16 v[220:223], v[128:129], v[168:169], v[220:223]// 000000007310: D3CD00DC 07735180
	v_subrev_f32_dpp v94, v177, v94 quad_perm:[2,2,2,2] row_mask:0xf bank_mask:0xf// 000000007318: 06BCBCFA FF00AAB1
	v_subrev_f32_dpp v95, v177, v95 quad_perm:[3,3,3,3] row_mask:0xf bank_mask:0xf// 000000007320: 06BEBEFA FF00FFB1
	v_subrev_f32_dpp v96, v177, v96 quad_perm:[0,0,0,0] row_mask:0xf bank_mask:0xf// 000000007328: 06C0C0FA FF0000B1
	v_subrev_f32_dpp v97, v177, v97 quad_perm:[1,1,1,1] row_mask:0xf bank_mask:0xf// 000000007330: 06C2C2FA FF0055B1
	v_subrev_f32_dpp v98, v177, v98 quad_perm:[2,2,2,2] row_mask:0xf bank_mask:0xf// 000000007338: 06C4C4FA FF00AAB1
	v_subrev_f32_dpp v99, v177, v99 quad_perm:[3,3,3,3] row_mask:0xf bank_mask:0xf// 000000007340: 06C6C6FA FF00FFB1
	v_mfma_f32_16x16x16_f16 v[224:227], v[130:131], v[168:169], v[224:227]// 000000007348: D3CD00E0 07835182
	ds_write_b32 v20, v56 offset:22016                         // 000000007350: D81A5600 00003814
	ds_write_b32 v20, v57 offset:22560                         // 000000007358: D81A5820 00003914
	v_mfma_f32_16x16x16_f16 v[180:183], v[132:133], v[170:171], v[180:183]// 000000007360: D3CD00B4 06D35584
	v_mul_f32_e32 v88, v64, v88                                // 000000007368: 0AB0B140
	v_mul_f32_e32 v89, v65, v89                                // 00000000736C: 0AB2B341
	v_mul_f32_e32 v90, v66, v90                                // 000000007370: 0AB4B542
	v_mul_f32_e32 v91, v67, v91                                // 000000007374: 0AB6B743
	v_mul_f32_e32 v92, v68, v92                                // 000000007378: 0AB8B944
	v_mul_f32_e32 v93, v69, v93                                // 00000000737C: 0ABABB45
	v_mfma_f32_16x16x16_f16 v[184:187], v[134:135], v[170:171], v[184:187]// 000000007380: D3CD00B8 06E35586
	v_mul_f32_e32 v94, v70, v94                                // 000000007388: 0ABCBD46
	v_mul_f32_e32 v95, v71, v95                                // 00000000738C: 0ABEBF47
	v_mul_f32_e32 v96, v72, v96                                // 000000007390: 0AC0C148
	v_mul_f32_e32 v97, v73, v97                                // 000000007394: 0AC2C349
	v_mul_f32_e32 v98, v74, v98                                // 000000007398: 0AC4C54A
	v_mul_f32_e32 v99, v75, v99                                // 00000000739C: 0AC6C74B
	v_mfma_f32_16x16x16_f16 v[188:191], v[136:137], v[170:171], v[188:191]// 0000000073A0: D3CD00BC 06F35588
	v_cvt_pkrtz_f16_f32 v82, v88, v89                          // 0000000073A8: D2960052 0002B358
	v_cvt_pkrtz_f16_f32 v83, v90, v91                          // 0000000073B0: D2960053 0002B75A
	v_cvt_pkrtz_f16_f32 v84, v92, v93                          // 0000000073B8: D2960054 0002BB5C
	v_cvt_pkrtz_f16_f32 v85, v94, v95                          // 0000000073C0: D2960055 0002BF5E
	v_cvt_pkrtz_f16_f32 v86, v96, v97                          // 0000000073C8: D2960056 0002C360
	v_cvt_pkrtz_f16_f32 v87, v98, v99                          // 0000000073D0: D2960057 0002C762
	v_mfma_f32_16x16x16_f16 v[192:195], v[138:139], v[170:171], v[192:195]// 0000000073D8: D3CD00C0 0703558A
	v_mov_b32_dpp v18, v82 quad_perm:[1,0,3,2] row_mask:0xf bank_mask:0xf// 0000000073E0: 7E2402FA FF00B152
	v_perm_b32 v58, v18, v82, v17                              // 0000000073E8: D1ED003A 0446A512
	v_mov_b32_dpp v18, v83 quad_perm:[1,0,3,2] row_mask:0xf bank_mask:0xf// 0000000073F0: 7E2402FA FF00B153
	v_perm_b32 v59, v18, v83, v17                              // 0000000073F8: D1ED003B 0446A712
	v_mov_b32_dpp v18, v84 quad_perm:[1,0,3,2] row_mask:0xf bank_mask:0xf// 000000007400: 7E2402FA FF00B154
	v_perm_b32 v60, v18, v84, v17                              // 000000007408: D1ED003C 0446A912
	v_mfma_f32_16x16x16_f16 v[196:199], v[132:133], v[172:173], v[196:199]// 000000007410: D3CD00C4 07135984
	v_mov_b32_dpp v18, v85 quad_perm:[1,0,3,2] row_mask:0xf bank_mask:0xf// 000000007418: 7E2402FA FF00B155
	v_perm_b32 v61, v18, v85, v17                              // 000000007420: D1ED003D 0446AB12
	v_mov_b32_dpp v18, v86 quad_perm:[1,0,3,2] row_mask:0xf bank_mask:0xf// 000000007428: 7E2402FA FF00B156
	v_perm_b32 v62, v18, v86, v17                              // 000000007430: D1ED003E 0446AD12
	v_mov_b32_dpp v18, v87 quad_perm:[1,0,3,2] row_mask:0xf bank_mask:0xf// 000000007438: 7E2402FA FF00B157
	v_perm_b32 v63, v18, v87, v17                              // 000000007440: D1ED003F 0446AF12
	v_mfma_f32_16x16x16_f16 v[200:203], v[134:135], v[172:173], v[200:203]// 000000007448: D3CD00C8 07235986
	ds_write_b32 v20, v58 offset:24320                         // 000000007450: D81A5F00 00003A14
	ds_write_b32 v20, v59 offset:24864                         // 000000007458: D81A6120 00003B14
	v_mfma_f32_16x16x16_f16 v[204:207], v[136:137], v[172:173], v[204:207]// 000000007460: D3CD00CC 07335988
	v_mfma_f32_16x16x16_f16 v[208:211], v[138:139], v[172:173], v[208:211]// 000000007468: D3CD00D0 0743598A
	ds_write_b32 v20, v60 offset:26624                         // 000000007470: D81A6800 00003C14
	ds_write_b32 v20, v61 offset:27168                         // 000000007478: D81A6A20 00003D14
	ds_write_b32 v20, v62 offset:28928                         // 000000007480: D81A7100 00003E14
	ds_write_b32 v20, v63 offset:29472                         // 000000007488: D81A7320 00003F14
	v_mfma_f32_16x16x16_f16 v[212:215], v[132:133], v[174:175], v[212:215]// 000000007490: D3CD00D4 07535D84
	v_mfma_f32_16x16x16_f16 v[216:219], v[134:135], v[174:175], v[216:219]// 000000007498: D3CD00D8 07635D86
	ds_write_b32 v15, v100 offset:4352                         // 0000000074A0: D81A1100 0000640F
	ds_write_b32 v15, v101 offset:5408                         // 0000000074A8: D81A1520 0000650F
	v_mfma_f32_16x16x16_f16 v[220:223], v[136:137], v[174:175], v[220:223]// 0000000074B0: D3CD00DC 07735D88
	s_nop 0                                                    // 0000000074B8: BF800000
	s_nop 0                                                    // 0000000074BC: BF800000
	s_nop 0                                                    // 0000000074C0: BF800000
	v_mfma_f32_16x16x16_f16 v[224:227], v[138:139], v[174:175], v[224:227]// 0000000074C4: D3CD00E0 07835D8A
	ds_write_b32 v15, v102 offset:6528                         // 0000000074CC: D81A1980 0000660F
	ds_write_b32 v15, v103 offset:7584                         // 0000000074D4: D81A1DA0 0000670F
	s_barrier                                                  // 0000000074DC: BF8A0000
	v_mfma_f32_16x16x16_f16 a[112:115], a[96:97], v[76:77], a[112:115]// 0000000074E0: D3CD8070 0DC29960
	buffer_atomic_add_f32 v156, v6, s[32:35], 0 idxen          // 0000000074E8: E1342000 80089C06
	v_mfma_f32_16x16x16_f16 a[116:119], a[98:99], v[76:77], a[116:119]// 0000000074F0: D3CD8074 0DD29962
	ds_read_b32 v140, v23 offset:39424                         // 0000000074F8: D86C9A00 8C000017
	ds_read_b32 v144, v23 offset:39488                         // 000000007500: D86C9A40 90000017
	ds_read_b32 v176, v23 offset:39680                         // 000000007508: D86C9B00 B0000017
	ds_read_b32 v177, v23 offset:39744                         // 000000007510: D86C9B40 B1000017
	v_mfma_f32_16x16x16_f16 a[120:123], a[100:101], v[76:77], a[120:123]// 000000007518: D3CD8078 0DE29964
	s_waitcnt lgkmcnt(8)                                       // 000000007520: BF8CC87F
	s_barrier                                                  // 000000007524: BF8A0000
	v_mfma_f32_16x16x16_f16 a[124:127], a[102:103], v[76:77], a[124:127]// 000000007528: D3CD807C 0DF29966
	ds_read_b128 v[52:55], v19 offset:17408                    // 000000007530: D9FE4400 34000013
	v_mfma_f32_16x16x16_f16 a[128:131], a[96:97], v[78:79], a[128:131]// 000000007538: D3CD8080 0E029D60
	v_mfma_f32_16x16x16_f16 a[132:135], a[98:99], v[78:79], a[132:135]// 000000007540: D3CD8084 0E129D62
	ds_read_b128 v[56:59], v19 offset:18560                    // 000000007548: D9FE4880 38000013
	v_mfma_f32_16x16x16_f16 a[136:139], a[100:101], v[78:79], a[136:139]// 000000007550: D3CD8088 0E229D64
	buffer_atomic_add_f32 v157, v7, s[32:35], 0 idxen          // 000000007558: E1342000 80089D07
	v_mfma_f32_16x16x16_f16 a[140:143], a[102:103], v[78:79], a[140:143]// 000000007560: D3CD808C 0E329D66
	ds_read_b128 v[60:63], v19 offset:19712                    // 000000007568: D9FE4D00 3C000013
	v_mfma_f32_16x16x16_f16 a[144:147], a[96:97], v[80:81], a[144:147]// 000000007570: D3CD8090 0E42A160
	v_mfma_f32_16x16x16_f16 a[148:151], a[98:99], v[80:81], a[148:151]// 000000007578: D3CD8094 0E52A162
	ds_read_b128 v[64:67], v19 offset:20864                    // 000000007580: D9FE5180 40000013
	v_mfma_f32_16x16x16_f16 a[152:155], a[100:101], v[80:81], a[152:155]// 000000007588: D3CD8098 0E62A164
	v_mfma_f32_16x16x16_f16 a[156:159], a[102:103], v[80:81], a[156:159]// 000000007590: D3CD809C 0E72A166
	ds_read_b128 v[68:71], v19 offset:22016                    // 000000007598: D9FE5600 44000013
	v_mfma_f32_16x16x16_f16 a[112:115], a[104:105], v[82:83], a[112:115]// 0000000075A0: D3CD8070 0DC2A568
	buffer_atomic_add_f32 v158, v6, s[32:35], 0 idxen offset:128// 0000000075A8: E1342080 80089E06
	v_mfma_f32_16x16x16_f16 a[116:119], a[106:107], v[82:83], a[116:119]// 0000000075B0: D3CD8074 0DD2A56A
	ds_read_b128 v[72:75], v19 offset:23168                    // 0000000075B8: D9FE5A80 48000013
	v_mfma_f32_16x16x16_f16 a[120:123], a[108:109], v[82:83], a[120:123]// 0000000075C0: D3CD8078 0DE2A56C
	v_mfma_f32_16x16x16_f16 a[124:127], a[110:111], v[82:83], a[124:127]// 0000000075C8: D3CD807C 0DF2A56E
	ds_write_b32 v15, v104 offset:13056                        // 0000000075D0: D81A3300 0000680F
	v_mfma_f32_16x16x16_f16 a[128:131], a[104:105], v[84:85], a[128:131]// 0000000075D8: D3CD8080 0E02A968
	v_mfma_f32_16x16x16_f16 a[132:135], a[106:107], v[84:85], a[132:135]// 0000000075E0: D3CD8084 0E12A96A
	ds_write_b32 v15, v105 offset:14112                        // 0000000075E8: D81A3720 0000690F
	v_mfma_f32_16x16x16_f16 a[136:139], a[108:109], v[84:85], a[136:139]// 0000000075F0: D3CD8088 0E22A96C
	buffer_atomic_add_f32 v159, v7, s[32:35], 0 idxen offset:128// 0000000075F8: E1342080 80089F07
	v_mfma_f32_16x16x16_f16 a[140:143], a[110:111], v[84:85], a[140:143]// 000000007600: D3CD808C 0E32A96E
	ds_write_b32 v15, v106 offset:15232                        // 000000007608: D81A3B80 00006A0F
	v_mfma_f32_16x16x16_f16 a[144:147], a[104:105], v[86:87], a[144:147]// 000000007610: D3CD8090 0E42AD68
	v_mfma_f32_16x16x16_f16 a[148:151], a[106:107], v[86:87], a[148:151]// 000000007618: D3CD8094 0E52AD6A
	ds_write_b32 v15, v107 offset:16288                        // 000000007620: D81A3FA0 00006B0F
	v_mfma_f32_16x16x16_f16 a[152:155], a[108:109], v[86:87], a[152:155]// 000000007628: D3CD8098 0E62AD6C
	v_mfma_f32_16x16x16_f16 a[156:159], a[110:111], v[86:87], a[156:159]// 000000007630: D3CD809C 0E72AD6E
	s_waitcnt vmcnt(8) lgkmcnt(4)                              // 000000007638: BF8C0478
	s_barrier                                                  // 00000000763C: BF8A0000
	v_mfma_f32_16x16x16_f16 v[148:151], v[52:53], a[24:25], 0  // 000000007640: D3CD0094 12023134
	v_mul_f32_e32 v140, s48, v140                              // 000000007648: 0B191830
	v_mul_f32_e32 v144, s48, v144                              // 00000000764C: 0B212030
	s_nop 0                                                    // 000000007650: BF800000
	v_mfma_f32_16x16x16_f16 v[148:151], v[54:55], a[28:29], v[148:151]// 000000007654: D3CD0094 16523936
	ds_read_b128 a[96:99], v12                                 // 00000000765C: DBFE0000 6000000C
	buffer_load_dword v36, v1, s[8:11], 0 idxen                // 000000007664: E0502000 80022401
	v_mfma_f32_16x16x16_f16 v[148:151], v[56:57], a[32:33], v[148:151]// 00000000766C: D3CD0094 16524138
	v_mfma_f32_16x16x16_f16 v[148:151], v[58:59], a[36:37], v[148:151]// 000000007674: D3CD0094 1652493A
	ds_read_b128 a[100:103], v12 offset:512                    // 00000000767C: DBFE0200 6400000C
	buffer_load_dword v37, v2, s[8:11], 0 idxen                // 000000007684: E0502000 80022502
	v_mfma_f32_16x16x16_f16 v[148:151], v[60:61], a[40:41], v[148:151]// 00000000768C: D3CD0094 1652513C
	v_perm_b32 v100, v41, v40, s63                             // 000000007694: D1ED0064 00FE5129
	v_perm_b32 v101, v41, v40, s64                             // 00000000769C: D1ED0065 01025129
	v_mfma_f32_16x16x16_f16 v[148:151], v[62:63], a[44:45], v[148:151]// 0000000076A4: D3CD0094 1652593E
	ds_read_b128 a[104:107], v12 offset:2176                   // 0000000076AC: DBFE0880 6800000C
	buffer_load_dword v38, v3, s[8:11], 0 idxen                // 0000000076B4: E0502000 80022603
	v_mfma_f32_16x16x16_f16 v[148:151], v[64:65], a[48:49], v[148:151]// 0000000076BC: D3CD0094 16526140
	v_perm_b32 v102, v43, v42, s63                             // 0000000076C4: D1ED0066 00FE552B
	v_perm_b32 v103, v43, v42, s64                             // 0000000076CC: D1ED0067 0102552B
	v_mfma_f32_16x16x16_f16 v[148:151], v[66:67], a[52:53], v[148:151]// 0000000076D4: D3CD0094 16526942
	ds_read_b128 a[108:111], v12 offset:2688                   // 0000000076DC: DBFE0A80 6C00000C
	buffer_load_dword v39, v4, s[8:11], 0 idxen                // 0000000076E4: E0502000 80022704
	v_mfma_f32_16x16x16_f16 v[148:151], v[68:69], a[56:57], v[148:151]// 0000000076EC: D3CD0094 16527144
	v_perm_b32 v104, v49, v48, s63                             // 0000000076F4: D1ED0068 00FE6131
	v_perm_b32 v105, v49, v48, s64                             // 0000000076FC: D1ED0069 01026131
	v_mfma_f32_16x16x16_f16 v[148:151], v[70:71], a[60:61], v[148:151]// 000000007704: D3CD0094 16527946
	ds_read_b128 v[108:111], v12 offset:8704                   // 00000000770C: D9FE2200 6C00000C
	buffer_load_dword v44, v228, s[20:23], 0 idxen             // 000000007714: E0502000 80052CE4
	v_mfma_f32_16x16x16_f16 v[148:151], v[72:73], a[64:65], v[148:151]// 00000000771C: D3CD0094 16528148
	v_perm_b32 v106, v51, v50, s63                             // 000000007724: D1ED006A 00FE6533
	v_perm_b32 v107, v51, v50, s64                             // 00000000772C: D1ED006B 01026533
	v_mfma_f32_16x16x16_f16 v[148:151], v[74:75], a[68:69], v[148:151]// 000000007734: D3CD0094 1652894A
	ds_read_b128 v[112:115], v12 offset:9216                   // 00000000773C: D9FE2400 7000000C
	buffer_load_dword v45, v229, s[20:23], 0 idxen             // 000000007744: E0502000 80052DE5
	v_mfma_f32_16x16x16_f16 v[152:155], v[52:53], a[26:27], 0  // 00000000774C: D3CD0098 12023534
	v_mov_b32_dpp v143, v140 quad_perm:[3,3,3,3] row_mask:0xf bank_mask:0xf// 000000007754: 7F1E02FA FF00FF8C
	v_mov_b32_dpp v142, v140 quad_perm:[2,2,2,2] row_mask:0xf bank_mask:0xf// 00000000775C: 7F1C02FA FF00AA8C
	v_mov_b32_dpp v141, v140 quad_perm:[1,1,1,1] row_mask:0xf bank_mask:0xf// 000000007764: 7F1A02FA FF00558C
	v_mov_b32_dpp v140, v140 quad_perm:[0,0,0,0] row_mask:0xf bank_mask:0xf// 00000000776C: 7F1802FA FF00008C
	v_mfma_f32_16x16x16_f16 v[152:155], v[54:55], a[30:31], v[152:155]// 000000007774: D3CD0098 16623D36
	ds_read_b128 v[116:119], v12 offset:10880                  // 00000000777C: D9FE2A80 7400000C
	buffer_load_dword v46, v230, s[20:23], 0 idxen             // 000000007784: E0502000 80052EE6
	v_mfma_f32_16x16x16_f16 v[152:155], v[56:57], a[34:35], v[152:155]// 00000000778C: D3CD0098 16624538
	v_mov_b32_dpp v147, v144 quad_perm:[3,3,3,3] row_mask:0xf bank_mask:0xf// 000000007794: 7F2602FA FF00FF90
	v_mov_b32_dpp v146, v144 quad_perm:[2,2,2,2] row_mask:0xf bank_mask:0xf// 00000000779C: 7F2402FA FF00AA90
	v_mov_b32_dpp v145, v144 quad_perm:[1,1,1,1] row_mask:0xf bank_mask:0xf// 0000000077A4: 7F2202FA FF005590
	v_mov_b32_dpp v144, v144 quad_perm:[0,0,0,0] row_mask:0xf bank_mask:0xf// 0000000077AC: 7F2002FA FF000090
	s_add_u32 s60, 0x80, s59                                   // 0000000077B4: 803C3BFF 00000080
	v_mfma_f32_16x16x16_f16 v[152:155], v[58:59], a[38:39], v[152:155]// 0000000077BC: D3CD0098 16624D3A
	ds_read_b128 v[120:123], v12 offset:11392                  // 0000000077C4: D9FE2C80 7800000C
	buffer_load_dword v47, v231, s[20:23], 0 idxen             // 0000000077CC: E0502000 80052FE7
	v_mfma_f32_16x16x16_f16 v[152:155], v[60:61], a[42:43], v[152:155]// 0000000077D4: D3CD0098 1662553C
	s_cmp_lt_u32 s60, s58                                      // 0000000077DC: BF0A3A3C
	s_cselect_b32 s68, s68, 0                                  // 0000000077E0: 85448044
	s_cselect_b32 s99, s99, 0                                  // 0000000077E4: 85638063
	s_cselect_b32 s69, s69, 0                                  // 0000000077E8: 85458045
	v_mfma_f32_16x16x16_f16 v[152:155], v[62:63], a[46:47], v[152:155]// 0000000077EC: D3CD0098 16625D3E
	buffer_load_dword v11, s[24:27], 0 idxen lds               // 0000000077F4: E0512000 8006000B
	v_mfma_f32_16x16x16_f16 v[152:155], v[64:65], a[50:51], v[152:155]// 0000000077FC: D3CD0098 16626540
	v_add_u32_e32 v1, s68, v1                                  // 000000007804: 68020244
	v_add_u32_e32 v2, s68, v2                                  // 000000007808: 68040444
	v_add_u32_e32 v3, s68, v3                                  // 00000000780C: 68060644
	v_add_u32_e32 v4, s68, v4                                  // 000000007810: 68080844
	v_mfma_f32_16x16x16_f16 v[152:155], v[66:67], a[54:55], v[152:155]// 000000007814: D3CD0098 16626D42
	v_add_u32_e32 v228, s99, v228                              // 00000000781C: 69C9C863
	v_add_u32_e32 v229, s99, v229                              // 000000007820: 69CBCA63
	v_add_u32_e32 v230, s99, v230                              // 000000007824: 69CDCC63
	v_add_u32_e32 v231, s99, v231                              // 000000007828: 69CFCE63
	v_mfma_f32_16x16x16_f16 v[152:155], v[68:69], a[58:59], v[152:155]// 00000000782C: D3CD0098 16627544
	s_mov_b32 m0, s79                                          // 000000007834: BEFC004F
	v_add_u32_e32 v11, s69, v11                                // 000000007838: 68161645
	v_mfma_f32_16x16x16_f16 v[152:155], v[70:71], a[62:63], v[152:155]// 00000000783C: D3CD0098 16627D46
	s_cmp_ge_u32 s59, s73                                      // 000000007844: BF09493B
	s_cselect_b32 s66, s67, s66                                // 000000007848: 85424243
	v_mfma_f32_16x16x16_f16 v[152:155], v[72:73], a[66:67], v[152:155]// 00000000784C: D3CD0098 16628548
	s_addk_i32 s59, 0x20                                       // 000000007854: B73B0020
	s_nop 0                                                    // 000000007858: BF800000
	s_cmp_lt_i32 s59, s58                                      // 00000000785C: BF043A3B
	v_mfma_f32_16x16x16_f16 v[152:155], v[74:75], a[70:71], v[152:155]// 000000007860: D3CD0098 16628D4A
	s_cbranch_scc0 label_0EAE                                  // 000000007868: BF840001
	s_branch label_0647                                        // 00000000786C: BF82F7AB

0000000000007870 <label_0EAE>:
	s_nop 0                                                    // 000000007870: BF800000
	s_nop 0                                                    // 000000007874: BF800000
	s_branch label_1718                                        // 000000007878: BF820855

000000000000787c <label_0EB1>:
	s_waitcnt lgkmcnt(0)                                       // 00000000787C: BF8CC07F
	s_barrier                                                  // 000000007880: BF8A0000
	v_mfma_f32_16x16x16_f16 v[52:55], a[96:97], a[0:1], 0      // 000000007884: D3CD0034 1A020160
	v_mul_f32_e32 v148, s47, v148                              // 00000000788C: 0B29282F
	v_mul_f32_e32 v149, s47, v149                              // 000000007890: 0B2B2A2F
	v_mfma_f32_16x16x16_f16 v[52:55], a[98:99], a[2:3], v[52:55]// 000000007894: D3CD0034 1CD20562
	ds_write_b32 v13, v48 offset:8704                          // 00000000789C: D81A2200 0000300D
	ds_write_b32 v13, v49 offset:9760                          // 0000000078A4: D81A2620 0000310D
	v_mfma_f32_16x16x16_f16 v[52:55], a[100:101], a[4:5], v[52:55]// 0000000078AC: D3CD0034 1CD20964
	v_mul_f32_e32 v150, s47, v150                              // 0000000078B4: 0B2D2C2F
	v_mul_f32_e32 v151, s47, v151                              // 0000000078B8: 0B2F2E2F
	v_mfma_f32_16x16x16_f16 v[52:55], a[102:103], a[6:7], v[52:55]// 0000000078BC: D3CD0034 1CD20D66
	ds_write_b32 v13, v50 offset:10880                         // 0000000078C4: D81A2A80 0000320D
	ds_write_b32 v13, v51 offset:11936                         // 0000000078CC: D81A2EA0 0000330D
	v_mfma_f32_16x16x16_f16 v[56:59], a[96:97], a[8:9], 0      // 0000000078D4: D3CD0038 1A021160
	v_mul_f32_e32 v152, s47, v152                              // 0000000078DC: 0B31302F
	v_mul_f32_e32 v153, s47, v153                              // 0000000078E0: 0B33322F
	v_mfma_f32_16x16x16_f16 v[56:59], a[98:99], a[10:11], v[56:59]// 0000000078E4: D3CD0038 1CE21562
	ds_write_b64 v22, v[148:149] offset:31232                  // 0000000078EC: D89A7A00 00009416
	v_mfma_f32_16x16x16_f16 v[56:59], a[100:101], a[12:13], v[56:59]// 0000000078F4: D3CD0038 1CE21964
	v_mul_f32_e32 v154, s47, v154                              // 0000000078FC: 0B35342F
	v_mul_f32_e32 v155, s47, v155                              // 000000007900: 0B37362F
	v_mfma_f32_16x16x16_f16 v[56:59], a[102:103], a[14:15], v[56:59]// 000000007904: D3CD0038 1CE21D66
	ds_write_b64 v22, v[150:151] offset:31744                  // 00000000790C: D89A7C00 00009616
	v_mfma_f32_16x16x16_f16 v[60:63], a[96:97], a[16:17], 0    // 000000007914: D3CD003C 1A022160
	buffer_atomic_add_f32 v160, v8, s[32:35], 0 idxen          // 00000000791C: E1342000 8008A008
	v_mfma_f32_16x16x16_f16 v[60:63], a[98:99], a[18:19], v[60:63]// 000000007924: D3CD003C 1CF22562
	ds_write_b64 v22, v[152:153] offset:32256                  // 00000000792C: D89A7E00 00009816
	v_mfma_f32_16x16x16_f16 v[60:63], a[100:101], a[20:21], v[60:63]// 000000007934: D3CD003C 1CF22964
	v_mfma_f32_16x16x16_f16 v[60:63], a[102:103], a[22:23], v[60:63]// 00000000793C: D3CD003C 1CF22D66
	ds_write_b64 v22, v[154:155] offset:32768                  // 000000007944: D89A8000 00009A16
	v_mfma_f32_16x16x16_f16 v[64:67], a[104:105], a[0:1], 0    // 00000000794C: D3CD0040 1A020168
	buffer_atomic_add_f32 v161, v9, s[32:35], 0 idxen          // 000000007954: E1342000 8008A109
	v_mfma_f32_16x16x16_f16 v[64:67], a[106:107], a[2:3], v[64:67]// 00000000795C: D3CD0040 1D02056A
	ds_read_b128 v[124:127], v14 offset:13056                  // 000000007964: D9FE3300 7C00000E
	ds_write_b32 v13, v40                                      // 00000000796C: D81A0000 0000280D
	v_mfma_f32_16x16x16_f16 v[64:67], a[108:109], a[4:5], v[64:67]// 000000007974: D3CD0040 1D02096C
	v_mfma_f32_16x16x16_f16 v[64:67], a[110:111], a[6:7], v[64:67]// 00000000797C: D3CD0040 1D020D6E
	v_mfma_f32_16x16x16_f16 v[68:71], a[104:105], a[8:9], 0    // 000000007984: D3CD0044 1A021168
	ds_read_b128 v[128:131], v14 offset:13568                  // 00000000798C: D9FE3500 8000000E
	ds_write_b32 v13, v41 offset:1056                          // 000000007994: D81A0420 0000290D
	v_mfma_f32_16x16x16_f16 v[68:71], a[106:107], a[10:11], v[68:71]// 00000000799C: D3CD0044 1D12156A
	buffer_atomic_add_f32 v162, v8, s[32:35], 0 idxen offset:128// 0000000079A4: E1342080 8008A208
	v_mfma_f32_16x16x16_f16 v[68:71], a[108:109], a[12:13], v[68:71]// 0000000079AC: D3CD0044 1D12196C
	v_mfma_f32_16x16x16_f16 v[68:71], a[110:111], a[14:15], v[68:71]// 0000000079B4: D3CD0044 1D121D6E
	ds_read_b128 v[132:135], v14 offset:15232                  // 0000000079BC: D9FE3B80 8400000E
	ds_write_b32 v13, v42 offset:2176                          // 0000000079C4: D81A0880 00002A0D
	v_mfma_f32_16x16x16_f16 v[72:75], a[104:105], a[16:17], 0  // 0000000079CC: D3CD0048 1A022168
	v_mfma_f32_16x16x16_f16 v[72:75], a[106:107], a[18:19], v[72:75]// 0000000079D4: D3CD0048 1D22256A
	buffer_atomic_add_f32 v163, v9, s[32:35], 0 idxen offset:128// 0000000079DC: E1342080 8008A309
	v_mfma_f32_16x16x16_f16 v[72:75], a[108:109], a[20:21], v[72:75]// 0000000079E4: D3CD0048 1D22296C
	ds_read_b128 v[136:139], v14 offset:15744                  // 0000000079EC: D9FE3D80 8800000E
	ds_write_b32 v13, v43 offset:3232                          // 0000000079F4: D81A0CA0 00002B0D
	v_mfma_f32_16x16x16_f16 v[72:75], a[110:111], a[22:23], v[72:75]// 0000000079FC: D3CD0048 1D222D6E
	s_cmp_lt_i32 s74, 12                                       // 000000007A04: BF048C4A
	s_cbranch_scc0 label_0FFB                                  // 000000007A08: BF8400E6
	s_mov_b32 s60, 0xffe0fffe                                  // 000000007A0C: BEBC00FF FFE0FFFE
	s_mov_b32 s61, 0xe000fe00                                  // 000000007A14: BEBD00FF E000FE00
	s_nop 0                                                    // 000000007A1C: BF800000
	s_add_u32 s62, 0, s46                                      // 000000007A20: 803E2E80
	s_cmp_lt_i32 s74, s62                                      // 000000007A24: BF043E4A
	s_cbranch_scc1 label_0F45                                  // 000000007A28: BF850028
	s_cmp_eq_i32 s74, s62                                      // 000000007A2C: BF003E4A
	s_cbranch_scc1 label_0F2A                                  // 000000007A30: BF85000B
	s_add_u32 s62, 4, s46                                      // 000000007A34: 803E2E84
	s_cmp_lt_i32 s74, s62                                      // 000000007A38: BF043E4A
	s_cbranch_scc1 label_0F65                                  // 000000007A3C: BF850043
	s_cmp_eq_i32 s74, s62                                      // 000000007A40: BF003E4A
	s_cbranch_scc1 label_0F4A                                  // 000000007A44: BF850026
	s_add_u32 s62, 8, s46                                      // 000000007A48: 803E2E88
	s_cmp_lt_i32 s74, s62                                      // 000000007A4C: BF043E4A
	s_cbranch_scc1 label_0F85                                  // 000000007A50: BF85005E
	s_cmp_eq_i32 s74, s62                                      // 000000007A54: BF003E4A
	s_cbranch_scc1 label_0F6A                                  // 000000007A58: BF850041
	s_branch label_0F8A                                        // 000000007A5C: BF820060

0000000000007a60 <label_0F2A>:
	v_cndmask_b32_e64 v52, v52, v178, s[60:61]                 // 000000007A60: D1000034 00F36534
	s_lshl_b32 s60, s60, 1                                     // 000000007A68: 8E3C813C
	s_lshl_b32 s61, s61, 1                                     // 000000007A6C: 8E3D813D
	s_and_b32 s60, 0xfffeffff, s60                             // 000000007A70: 863C3CFF FFFEFFFF
	s_and_b32 s61, 0xfffeffff, s61                             // 000000007A78: 863D3DFF FFFEFFFF
	v_cndmask_b32_e64 v53, v53, v178, s[60:61]                 // 000000007A80: D1000035 00F36535
	s_lshl_b32 s60, s60, 1                                     // 000000007A88: 8E3C813C
	s_lshl_b32 s61, s61, 1                                     // 000000007A8C: 8E3D813D
	s_and_b32 s60, 0xfffeffff, s60                             // 000000007A90: 863C3CFF FFFEFFFF
	s_and_b32 s61, 0xfffeffff, s61                             // 000000007A98: 863D3DFF FFFEFFFF
	v_cndmask_b32_e64 v54, v54, v178, s[60:61]                 // 000000007AA0: D1000036 00F36536
	s_lshl_b32 s60, s60, 1                                     // 000000007AA8: 8E3C813C
	s_lshl_b32 s61, s61, 1                                     // 000000007AAC: 8E3D813D
	s_and_b32 s60, 0xfffeffff, s60                             // 000000007AB0: 863C3CFF FFFEFFFF
	s_and_b32 s61, 0xfffeffff, s61                             // 000000007AB8: 863D3DFF FFFEFFFF
	v_cndmask_b32_e64 v55, v55, v178, s[60:61]                 // 000000007AC0: D1000037 00F36537
	s_branch label_0F65                                        // 000000007AC8: BF820020

0000000000007acc <label_0F45>:
	v_mov_b32_e32 v52, v178                                    // 000000007ACC: 7E6803B2
	v_mov_b32_e32 v53, v178                                    // 000000007AD0: 7E6A03B2
	v_mov_b32_e32 v54, v178                                    // 000000007AD4: 7E6C03B2
	v_mov_b32_e32 v55, v178                                    // 000000007AD8: 7E6E03B2
	s_branch label_0F65                                        // 000000007ADC: BF82001B

0000000000007ae0 <label_0F4A>:
	v_cndmask_b32_e64 v56, v56, v178, s[60:61]                 // 000000007AE0: D1000038 00F36538
	s_lshl_b32 s60, s60, 1                                     // 000000007AE8: 8E3C813C
	s_lshl_b32 s61, s61, 1                                     // 000000007AEC: 8E3D813D
	s_and_b32 s60, 0xfffeffff, s60                             // 000000007AF0: 863C3CFF FFFEFFFF
	s_and_b32 s61, 0xfffeffff, s61                             // 000000007AF8: 863D3DFF FFFEFFFF
	v_cndmask_b32_e64 v57, v57, v178, s[60:61]                 // 000000007B00: D1000039 00F36539
	s_lshl_b32 s60, s60, 1                                     // 000000007B08: 8E3C813C
	s_lshl_b32 s61, s61, 1                                     // 000000007B0C: 8E3D813D
	s_and_b32 s60, 0xfffeffff, s60                             // 000000007B10: 863C3CFF FFFEFFFF
	s_and_b32 s61, 0xfffeffff, s61                             // 000000007B18: 863D3DFF FFFEFFFF
	v_cndmask_b32_e64 v58, v58, v178, s[60:61]                 // 000000007B20: D100003A 00F3653A
	s_lshl_b32 s60, s60, 1                                     // 000000007B28: 8E3C813C
	s_lshl_b32 s61, s61, 1                                     // 000000007B2C: 8E3D813D
	s_and_b32 s60, 0xfffeffff, s60                             // 000000007B30: 863C3CFF FFFEFFFF
	s_and_b32 s61, 0xfffeffff, s61                             // 000000007B38: 863D3DFF FFFEFFFF
	v_cndmask_b32_e64 v59, v59, v178, s[60:61]                 // 000000007B40: D100003B 00F3653B
	s_branch label_0F85                                        // 000000007B48: BF820020

0000000000007b4c <label_0F65>:
	v_mov_b32_e32 v56, v178                                    // 000000007B4C: 7E7003B2
	v_mov_b32_e32 v57, v178                                    // 000000007B50: 7E7203B2
	v_mov_b32_e32 v58, v178                                    // 000000007B54: 7E7403B2
	v_mov_b32_e32 v59, v178                                    // 000000007B58: 7E7603B2
	s_branch label_0F85                                        // 000000007B5C: BF82001B

0000000000007b60 <label_0F6A>:
	v_cndmask_b32_e64 v60, v60, v178, s[60:61]                 // 000000007B60: D100003C 00F3653C
	s_lshl_b32 s60, s60, 1                                     // 000000007B68: 8E3C813C
	s_lshl_b32 s61, s61, 1                                     // 000000007B6C: 8E3D813D
	s_and_b32 s60, 0xfffeffff, s60                             // 000000007B70: 863C3CFF FFFEFFFF
	s_and_b32 s61, 0xfffeffff, s61                             // 000000007B78: 863D3DFF FFFEFFFF
	v_cndmask_b32_e64 v61, v61, v178, s[60:61]                 // 000000007B80: D100003D 00F3653D
	s_lshl_b32 s60, s60, 1                                     // 000000007B88: 8E3C813C
	s_lshl_b32 s61, s61, 1                                     // 000000007B8C: 8E3D813D
	s_and_b32 s60, 0xfffeffff, s60                             // 000000007B90: 863C3CFF FFFEFFFF
	s_and_b32 s61, 0xfffeffff, s61                             // 000000007B98: 863D3DFF FFFEFFFF
	v_cndmask_b32_e64 v62, v62, v178, s[60:61]                 // 000000007BA0: D100003E 00F3653E
	s_lshl_b32 s60, s60, 1                                     // 000000007BA8: 8E3C813C
	s_lshl_b32 s61, s61, 1                                     // 000000007BAC: 8E3D813D
	s_and_b32 s60, 0xfffeffff, s60                             // 000000007BB0: 863C3CFF FFFEFFFF
	s_and_b32 s61, 0xfffeffff, s61                             // 000000007BB8: 863D3DFF FFFEFFFF
	v_cndmask_b32_e64 v63, v63, v178, s[60:61]                 // 000000007BC0: D100003F 00F3653F
	s_branch label_0F8A                                        // 000000007BC8: BF820005

0000000000007bcc <label_0F85>:
	v_mov_b32_e32 v60, v178                                    // 000000007BCC: 7E7803B2
	v_mov_b32_e32 v61, v178                                    // 000000007BD0: 7E7A03B2
	v_mov_b32_e32 v62, v178                                    // 000000007BD4: 7E7C03B2
	v_mov_b32_e32 v63, v178                                    // 000000007BD8: 7E7E03B2
	s_branch label_0F8A                                        // 000000007BDC: BF820000

0000000000007be0 <label_0F8A>:
	s_addk_i32 s74, 0x1                                        // 000000007BE0: B74A0001
	s_add_u32 s62, 0, s46                                      // 000000007BE4: 803E2E80
	s_cmp_lt_i32 s74, s62                                      // 000000007BE8: BF043E4A
	s_cbranch_scc1 label_0FB6                                  // 000000007BEC: BF850028
	s_cmp_eq_i32 s74, s62                                      // 000000007BF0: BF003E4A
	s_cbranch_scc1 label_0F9B                                  // 000000007BF4: BF85000B
	s_add_u32 s62, 4, s46                                      // 000000007BF8: 803E2E84
	s_cmp_lt_i32 s74, s62                                      // 000000007BFC: BF043E4A
	s_cbranch_scc1 label_0FD6                                  // 000000007C00: BF850043
	s_cmp_eq_i32 s74, s62                                      // 000000007C04: BF003E4A
	s_cbranch_scc1 label_0FBB                                  // 000000007C08: BF850026
	s_add_u32 s62, 8, s46                                      // 000000007C0C: 803E2E88
	s_cmp_lt_i32 s74, s62                                      // 000000007C10: BF043E4A
	s_cbranch_scc1 label_0FF6                                  // 000000007C14: BF85005E
	s_cmp_eq_i32 s74, s62                                      // 000000007C18: BF003E4A
	s_cbranch_scc1 label_0FDB                                  // 000000007C1C: BF850041
	s_branch label_0FFB                                        // 000000007C20: BF820060

0000000000007c24 <label_0F9B>:
	v_cndmask_b32_e64 v64, v64, v178, s[60:61]                 // 000000007C24: D1000040 00F36540
	s_lshl_b32 s60, s60, 1                                     // 000000007C2C: 8E3C813C
	s_lshl_b32 s61, s61, 1                                     // 000000007C30: 8E3D813D
	s_and_b32 s60, 0xfffeffff, s60                             // 000000007C34: 863C3CFF FFFEFFFF
	s_and_b32 s61, 0xfffeffff, s61                             // 000000007C3C: 863D3DFF FFFEFFFF
	v_cndmask_b32_e64 v65, v65, v178, s[60:61]                 // 000000007C44: D1000041 00F36541
	s_lshl_b32 s60, s60, 1                                     // 000000007C4C: 8E3C813C
	s_lshl_b32 s61, s61, 1                                     // 000000007C50: 8E3D813D
	s_and_b32 s60, 0xfffeffff, s60                             // 000000007C54: 863C3CFF FFFEFFFF
	s_and_b32 s61, 0xfffeffff, s61                             // 000000007C5C: 863D3DFF FFFEFFFF
	v_cndmask_b32_e64 v66, v66, v178, s[60:61]                 // 000000007C64: D1000042 00F36542
	s_lshl_b32 s60, s60, 1                                     // 000000007C6C: 8E3C813C
	s_lshl_b32 s61, s61, 1                                     // 000000007C70: 8E3D813D
	s_and_b32 s60, 0xfffeffff, s60                             // 000000007C74: 863C3CFF FFFEFFFF
	s_and_b32 s61, 0xfffeffff, s61                             // 000000007C7C: 863D3DFF FFFEFFFF
	v_cndmask_b32_e64 v67, v67, v178, s[60:61]                 // 000000007C84: D1000043 00F36543
	s_branch label_0FD6                                        // 000000007C8C: BF820020

0000000000007c90 <label_0FB6>:
	v_mov_b32_e32 v64, v178                                    // 000000007C90: 7E8003B2
	v_mov_b32_e32 v65, v178                                    // 000000007C94: 7E8203B2
	v_mov_b32_e32 v66, v178                                    // 000000007C98: 7E8403B2
	v_mov_b32_e32 v67, v178                                    // 000000007C9C: 7E8603B2
	s_branch label_0FD6                                        // 000000007CA0: BF82001B

0000000000007ca4 <label_0FBB>:
	v_cndmask_b32_e64 v68, v68, v178, s[60:61]                 // 000000007CA4: D1000044 00F36544
	s_lshl_b32 s60, s60, 1                                     // 000000007CAC: 8E3C813C
	s_lshl_b32 s61, s61, 1                                     // 000000007CB0: 8E3D813D
	s_and_b32 s60, 0xfffeffff, s60                             // 000000007CB4: 863C3CFF FFFEFFFF
	s_and_b32 s61, 0xfffeffff, s61                             // 000000007CBC: 863D3DFF FFFEFFFF
	v_cndmask_b32_e64 v69, v69, v178, s[60:61]                 // 000000007CC4: D1000045 00F36545
	s_lshl_b32 s60, s60, 1                                     // 000000007CCC: 8E3C813C
	s_lshl_b32 s61, s61, 1                                     // 000000007CD0: 8E3D813D
	s_and_b32 s60, 0xfffeffff, s60                             // 000000007CD4: 863C3CFF FFFEFFFF
	s_and_b32 s61, 0xfffeffff, s61                             // 000000007CDC: 863D3DFF FFFEFFFF
	v_cndmask_b32_e64 v70, v70, v178, s[60:61]                 // 000000007CE4: D1000046 00F36546
	s_lshl_b32 s60, s60, 1                                     // 000000007CEC: 8E3C813C
	s_lshl_b32 s61, s61, 1                                     // 000000007CF0: 8E3D813D
	s_and_b32 s60, 0xfffeffff, s60                             // 000000007CF4: 863C3CFF FFFEFFFF
	s_and_b32 s61, 0xfffeffff, s61                             // 000000007CFC: 863D3DFF FFFEFFFF
	v_cndmask_b32_e64 v71, v71, v178, s[60:61]                 // 000000007D04: D1000047 00F36547
	s_branch label_0FF6                                        // 000000007D0C: BF820020

0000000000007d10 <label_0FD6>:
	v_mov_b32_e32 v68, v178                                    // 000000007D10: 7E8803B2
	v_mov_b32_e32 v69, v178                                    // 000000007D14: 7E8A03B2
	v_mov_b32_e32 v70, v178                                    // 000000007D18: 7E8C03B2
	v_mov_b32_e32 v71, v178                                    // 000000007D1C: 7E8E03B2
	s_branch label_0FF6                                        // 000000007D20: BF82001B

0000000000007d24 <label_0FDB>:
	v_cndmask_b32_e64 v72, v72, v178, s[60:61]                 // 000000007D24: D1000048 00F36548
	s_lshl_b32 s60, s60, 1                                     // 000000007D2C: 8E3C813C
	s_lshl_b32 s61, s61, 1                                     // 000000007D30: 8E3D813D
	s_and_b32 s60, 0xfffeffff, s60                             // 000000007D34: 863C3CFF FFFEFFFF
	s_and_b32 s61, 0xfffeffff, s61                             // 000000007D3C: 863D3DFF FFFEFFFF
	v_cndmask_b32_e64 v73, v73, v178, s[60:61]                 // 000000007D44: D1000049 00F36549
	s_lshl_b32 s60, s60, 1                                     // 000000007D4C: 8E3C813C
	s_lshl_b32 s61, s61, 1                                     // 000000007D50: 8E3D813D
	s_and_b32 s60, 0xfffeffff, s60                             // 000000007D54: 863C3CFF FFFEFFFF
	s_and_b32 s61, 0xfffeffff, s61                             // 000000007D5C: 863D3DFF FFFEFFFF
	v_cndmask_b32_e64 v74, v74, v178, s[60:61]                 // 000000007D64: D100004A 00F3654A
	s_lshl_b32 s60, s60, 1                                     // 000000007D6C: 8E3C813C
	s_lshl_b32 s61, s61, 1                                     // 000000007D70: 8E3D813D
	s_and_b32 s60, 0xfffeffff, s60                             // 000000007D74: 863C3CFF FFFEFFFF
	s_and_b32 s61, 0xfffeffff, s61                             // 000000007D7C: 863D3DFF FFFEFFFF
	v_cndmask_b32_e64 v75, v75, v178, s[60:61]                 // 000000007D84: D100004B 00F3654B
	s_branch label_0FFB                                        // 000000007D8C: BF820005

0000000000007d90 <label_0FF6>:
	v_mov_b32_e32 v72, v178                                    // 000000007D90: 7E9003B2
	v_mov_b32_e32 v73, v178                                    // 000000007D94: 7E9203B2
	v_mov_b32_e32 v74, v178                                    // 000000007D98: 7E9403B2
	v_mov_b32_e32 v75, v178                                    // 000000007D9C: 7E9603B2
	s_branch label_0FFB                                        // 000000007DA0: BF820000

0000000000007da4 <label_0FFB>:
	s_cmp_lt_i32 s101, 0xc0                                    // 000000007DA4: BF04FF65 000000C0
	s_cbranch_scc0 label_1074                                  // 000000007DAC: BF84006D
	s_cmp_le_i32 s101, 64                                      // 000000007DB0: BF05C065
	s_cbranch_scc1 label_1007                                  // 000000007DB4: BF850007
	s_cmp_le_i32 s101, 0x80                                    // 000000007DB8: BF05FF65 00000080
	s_cbranch_scc1 label_102B                                  // 000000007DC0: BF85001F
	s_cmp_lt_i32 s101, 0xc0                                    // 000000007DC4: BF04FF65 000000C0
	s_cbranch_scc1 label_104F                                  // 000000007DCC: BF850040
	s_branch label_1074                                        // 000000007DD0: BF820064

0000000000007dd4 <label_1007>:
	s_mov_b32 s60, 0                                           // 000000007DD4: BEBC0080
	v_and_b32_e32 v32, 15, v0                                  // 000000007DD8: 2640008F
	v_add_u32_e64 v32, v32, s60                                // 000000007DDC: D1340020 00007920
	v_mul_i32_i24_e64 v33, s46, 16                             // 000000007DE4: D1060021 0001202E
	v_add_u32_e32 v32, v32, v33                                // 000000007DEC: 68404320
	v_cmp_lt_u32_e64 s[60:61], v32, s101                       // 000000007DF0: D0C9003C 0000CB20
	s_nop 1                                                    // 000000007DF8: BF800001
	v_cndmask_b32_e64 v52, v178, v52, s[60:61]                 // 000000007DFC: D1000034 00F269B2
	v_cndmask_b32_e64 v64, v178, v64, s[60:61]                 // 000000007E04: D1000040 00F281B2
	v_cndmask_b32_e64 v53, v178, v53, s[60:61]                 // 000000007E0C: D1000035 00F26BB2
	v_cndmask_b32_e64 v65, v178, v65, s[60:61]                 // 000000007E14: D1000041 00F283B2
	v_cndmask_b32_e64 v54, v178, v54, s[60:61]                 // 000000007E1C: D1000036 00F26DB2
	v_cndmask_b32_e64 v66, v178, v66, s[60:61]                 // 000000007E24: D1000042 00F285B2
	v_cndmask_b32_e64 v55, v178, v55, s[60:61]                 // 000000007E2C: D1000037 00F26FB2
	v_cndmask_b32_e64 v67, v178, v67, s[60:61]                 // 000000007E34: D1000043 00F287B2
	s_branch label_1046                                        // 000000007E3C: BF82001B

0000000000007e40 <label_102B>:
	s_mov_b32 s60, 64                                          // 000000007E40: BEBC00C0
	v_and_b32_e32 v32, 15, v0                                  // 000000007E44: 2640008F
	v_add_u32_e64 v32, v32, s60                                // 000000007E48: D1340020 00007920
	v_mul_i32_i24_e64 v33, s46, 16                             // 000000007E50: D1060021 0001202E
	v_add_u32_e32 v32, v32, v33                                // 000000007E58: 68404320
	v_cmp_lt_u32_e64 s[60:61], v32, s101                       // 000000007E5C: D0C9003C 0000CB20
	s_nop 1                                                    // 000000007E64: BF800001
	v_cndmask_b32_e64 v56, v178, v56, s[60:61]                 // 000000007E68: D1000038 00F271B2
	v_cndmask_b32_e64 v68, v178, v68, s[60:61]                 // 000000007E70: D1000044 00F289B2
	v_cndmask_b32_e64 v57, v178, v57, s[60:61]                 // 000000007E78: D1000039 00F273B2
	v_cndmask_b32_e64 v69, v178, v69, s[60:61]                 // 000000007E80: D1000045 00F28BB2
	v_cndmask_b32_e64 v58, v178, v58, s[60:61]                 // 000000007E88: D100003A 00F275B2
	v_cndmask_b32_e64 v70, v178, v70, s[60:61]                 // 000000007E90: D1000046 00F28DB2
	v_cndmask_b32_e64 v59, v178, v59, s[60:61]                 // 000000007E98: D100003B 00F277B2
	v_cndmask_b32_e64 v71, v178, v71, s[60:61]                 // 000000007EA0: D1000047 00F28FB2
	s_branch label_106B                                        // 000000007EA8: BF820025

0000000000007eac <label_1046>:
	v_mov_b32_e32 v56, v178                                    // 000000007EAC: 7E7003B2
	v_mov_b32_e32 v68, v178                                    // 000000007EB0: 7E8803B2
	v_mov_b32_e32 v57, v178                                    // 000000007EB4: 7E7203B2
	v_mov_b32_e32 v69, v178                                    // 000000007EB8: 7E8A03B2
	v_mov_b32_e32 v58, v178                                    // 000000007EBC: 7E7403B2
	v_mov_b32_e32 v70, v178                                    // 000000007EC0: 7E8C03B2
	v_mov_b32_e32 v59, v178                                    // 000000007EC4: 7E7603B2
	v_mov_b32_e32 v71, v178                                    // 000000007EC8: 7E8E03B2
	s_branch label_106B                                        // 000000007ECC: BF82001C

0000000000007ed0 <label_104F>:
	s_mov_b32 s60, 0x80                                        // 000000007ED0: BEBC00FF 00000080
	v_and_b32_e32 v32, 15, v0                                  // 000000007ED8: 2640008F
	v_add_u32_e64 v32, v32, s60                                // 000000007EDC: D1340020 00007920
	v_mul_i32_i24_e64 v33, s46, 16                             // 000000007EE4: D1060021 0001202E
	v_add_u32_e32 v32, v32, v33                                // 000000007EEC: 68404320
	v_cmp_lt_u32_e64 s[60:61], v32, s101                       // 000000007EF0: D0C9003C 0000CB20
	s_nop 1                                                    // 000000007EF8: BF800001
	v_cndmask_b32_e64 v60, v178, v60, s[60:61]                 // 000000007EFC: D100003C 00F279B2
	v_cndmask_b32_e64 v72, v178, v72, s[60:61]                 // 000000007F04: D1000048 00F291B2
	v_cndmask_b32_e64 v61, v178, v61, s[60:61]                 // 000000007F0C: D100003D 00F27BB2
	v_cndmask_b32_e64 v73, v178, v73, s[60:61]                 // 000000007F14: D1000049 00F293B2
	v_cndmask_b32_e64 v62, v178, v62, s[60:61]                 // 000000007F1C: D100003E 00F27DB2
	v_cndmask_b32_e64 v74, v178, v74, s[60:61]                 // 000000007F24: D100004A 00F295B2
	v_cndmask_b32_e64 v63, v178, v63, s[60:61]                 // 000000007F2C: D100003F 00F27FB2
	v_cndmask_b32_e64 v75, v178, v75, s[60:61]                 // 000000007F34: D100004B 00F297B2
	s_branch label_1074                                        // 000000007F3C: BF820009

0000000000007f40 <label_106B>:
	v_mov_b32_e32 v60, v178                                    // 000000007F40: 7E7803B2
	v_mov_b32_e32 v72, v178                                    // 000000007F44: 7E9003B2
	v_mov_b32_e32 v61, v178                                    // 000000007F48: 7E7A03B2
	v_mov_b32_e32 v73, v178                                    // 000000007F4C: 7E9203B2
	v_mov_b32_e32 v62, v178                                    // 000000007F50: 7E7C03B2
	v_mov_b32_e32 v74, v178                                    // 000000007F54: 7E9403B2
	v_mov_b32_e32 v63, v178                                    // 000000007F58: 7E7E03B2
	v_mov_b32_e32 v75, v178                                    // 000000007F5C: 7E9603B2
	s_branch label_1074                                        // 000000007F60: BF820000

0000000000007f64 <label_1074>:
	s_addk_i32 s74, 0x1                                        // 000000007F64: B74A0001
	s_waitcnt lgkmcnt(8)                                       // 000000007F68: BF8CC87F
	s_barrier                                                  // 000000007F6C: BF8A0000
	v_mfma_f32_16x16x16_f16 v[76:79], v[108:109], a[72:73], 0  // 000000007F70: D3CD004C 1202916C
	v_fma_f32 v52, v52, s57, -v140                             // 000000007F78: D1CB0034 86307334
	v_fma_f32 v53, v53, s57, -v141                             // 000000007F80: D1CB0035 86347335
	v_fma_f32 v54, v54, s57, -v142                             // 000000007F88: D1CB0036 86387336
	v_fma_f32 v55, v55, s57, -v143                             // 000000007F90: D1CB0037 863C7337
	v_fma_f32 v56, v56, s57, -v140                             // 000000007F98: D1CB0038 86307338
	v_fma_f32 v57, v57, s57, -v141                             // 000000007FA0: D1CB0039 86347339
	v_mfma_f32_16x16x16_f16 v[76:79], v[110:111], a[74:75], v[76:79]// 000000007FA8: D3CD004C 1532956E
	ds_read_b128 a[96:99], v14 offset:4352                     // 000000007FB0: DBFE1100 6000000E
	ds_read_b128 a[100:103], v14 offset:4864                   // 000000007FB8: DBFE1300 6400000E
	v_mfma_f32_16x16x16_f16 v[76:79], v[112:113], a[76:77], v[76:79]// 000000007FC0: D3CD004C 15329970
	v_fma_f32 v58, v58, s57, -v142                             // 000000007FC8: D1CB003A 8638733A
	v_fma_f32 v59, v59, s57, -v143                             // 000000007FD0: D1CB003B 863C733B
	v_fma_f32 v60, v60, s57, -v140                             // 000000007FD8: D1CB003C 8630733C
	v_fma_f32 v61, v61, s57, -v141                             // 000000007FE0: D1CB003D 8634733D
	v_fma_f32 v62, v62, s57, -v142                             // 000000007FE8: D1CB003E 8638733E
	v_fma_f32 v63, v63, s57, -v143                             // 000000007FF0: D1CB003F 863C733F
	v_mfma_f32_16x16x16_f16 v[76:79], v[114:115], a[78:79], v[76:79]// 000000007FF8: D3CD004C 15329D72
	v_fma_f32 v64, v64, s57, -v144                             // 000000008000: D1CB0040 86407340
	v_fma_f32 v65, v65, s57, -v145                             // 000000008008: D1CB0041 86447341
	v_fma_f32 v66, v66, s57, -v146                             // 000000008010: D1CB0042 86487342
	v_fma_f32 v67, v67, s57, -v147                             // 000000008018: D1CB0043 864C7343
	v_fma_f32 v68, v68, s57, -v144                             // 000000008020: D1CB0044 86407344
	v_fma_f32 v69, v69, s57, -v145                             // 000000008028: D1CB0045 86447345
	v_mfma_f32_16x16x16_f16 v[80:83], v[108:109], a[80:81], 0  // 000000008030: D3CD0050 1202A16C
	v_fma_f32 v70, v70, s57, -v146                             // 000000008038: D1CB0046 86487346
	v_fma_f32 v71, v71, s57, -v147                             // 000000008040: D1CB0047 864C7347
	v_fma_f32 v72, v72, s57, -v144                             // 000000008048: D1CB0048 86407348
	v_fma_f32 v73, v73, s57, -v145                             // 000000008050: D1CB0049 86447349
	v_fma_f32 v74, v74, s57, -v146                             // 000000008058: D1CB004A 8648734A
	v_fma_f32 v75, v75, s57, -v147                             // 000000008060: D1CB004B 864C734B
	v_mfma_f32_16x16x16_f16 v[80:83], v[110:111], a[82:83], v[80:83]// 000000008068: D3CD0050 1542A56E
	ds_read_b128 a[104:107], v14 offset:6528                   // 000000008070: DBFE1980 6800000E
	ds_read_b128 a[108:111], v14 offset:7040                   // 000000008078: DBFE1B80 6C00000E
	v_mfma_f32_16x16x16_f16 v[80:83], v[112:113], a[84:85], v[80:83]// 000000008080: D3CD0050 1542A970
	v_exp_f32_e32 v52, v52                                     // 000000008088: 7E684134
	v_exp_f32_e32 v53, v53                                     // 00000000808C: 7E6A4135
	v_mfma_f32_16x16x16_f16 v[80:83], v[114:115], a[86:87], v[80:83]// 000000008090: D3CD0050 1542AD72
	v_exp_f32_e32 v54, v54                                     // 000000008098: 7E6C4136
	v_exp_f32_e32 v55, v55                                     // 00000000809C: 7E6E4137
	v_mfma_f32_16x16x16_f16 v[84:87], v[108:109], a[88:89], 0  // 0000000080A0: D3CD0054 1202B16C
	v_exp_f32_e32 v56, v56                                     // 0000000080A8: 7E704138
	v_exp_f32_e32 v57, v57                                     // 0000000080AC: 7E724139
	v_mfma_f32_16x16x16_f16 v[84:87], v[110:111], a[90:91], v[84:87]// 0000000080B0: D3CD0054 1552B56E
	ds_read_b64 v[156:157], v21 offset:31232                   // 0000000080B8: D8EC7A00 9C000015
	ds_read_b64 v[158:159], v21 offset:33280                   // 0000000080C0: D8EC8200 9E000015
	v_mfma_f32_16x16x16_f16 v[84:87], v[112:113], a[92:93], v[84:87]// 0000000080C8: D3CD0054 1552B970
	v_exp_f32_e32 v58, v58                                     // 0000000080D0: 7E74413A
	v_exp_f32_e32 v59, v59                                     // 0000000080D4: 7E76413B
	v_mfma_f32_16x16x16_f16 v[84:87], v[114:115], a[94:95], v[84:87]// 0000000080D8: D3CD0054 1552BD72
	ds_read_b64 v[160:161], v21 offset:35328                   // 0000000080E0: D8EC8A00 A0000015
	ds_read_b64 v[162:163], v21 offset:37376                   // 0000000080E8: D8EC9200 A2000015
	v_mfma_f32_16x16x16_f16 v[88:91], v[116:117], a[72:73], 0  // 0000000080F0: D3CD0058 12029174
	v_exp_f32_e32 v60, v60                                     // 0000000080F8: 7E78413C
	v_exp_f32_e32 v61, v61                                     // 0000000080FC: 7E7A413D
	v_mfma_f32_16x16x16_f16 v[88:91], v[118:119], a[74:75], v[88:91]// 000000008100: D3CD0058 15629576
	v_exp_f32_e32 v62, v62                                     // 000000008108: 7E7C413E
	v_exp_f32_e32 v63, v63                                     // 00000000810C: 7E7E413F
	v_mfma_f32_16x16x16_f16 v[88:91], v[120:121], a[76:77], v[88:91]// 000000008110: D3CD0058 15629978
	v_exp_f32_e32 v64, v64                                     // 000000008118: 7E804140
	v_exp_f32_e32 v65, v65                                     // 00000000811C: 7E824141
	v_mfma_f32_16x16x16_f16 v[88:91], v[122:123], a[78:79], v[88:91]// 000000008120: D3CD0058 15629D7A
	v_exp_f32_e32 v66, v66                                     // 000000008128: 7E844142
	v_exp_f32_e32 v67, v67                                     // 00000000812C: 7E864143
	v_mfma_f32_16x16x16_f16 v[92:95], v[116:117], a[80:81], 0  // 000000008130: D3CD005C 1202A174
	v_exp_f32_e32 v68, v68                                     // 000000008138: 7E884144
	v_exp_f32_e32 v69, v69                                     // 00000000813C: 7E8A4145
	v_mfma_f32_16x16x16_f16 v[92:95], v[118:119], a[82:83], v[92:95]// 000000008140: D3CD005C 1572A576
	v_exp_f32_e32 v70, v70                                     // 000000008148: 7E8C4146
	v_exp_f32_e32 v71, v71                                     // 00000000814C: 7E8E4147
	v_mfma_f32_16x16x16_f16 v[92:95], v[120:121], a[84:85], v[92:95]// 000000008150: D3CD005C 1572A978
	v_exp_f32_e32 v72, v72                                     // 000000008158: 7E904148
	v_exp_f32_e32 v73, v73                                     // 00000000815C: 7E924149
	v_mfma_f32_16x16x16_f16 v[92:95], v[122:123], a[86:87], v[92:95]// 000000008160: D3CD005C 1572AD7A
	v_exp_f32_e32 v74, v74                                     // 000000008168: 7E94414A
	v_exp_f32_e32 v75, v75                                     // 00000000816C: 7E96414B
	v_mfma_f32_16x16x16_f16 v[96:99], v[116:117], a[88:89], 0  // 000000008170: D3CD0060 1202B174
	v_cvt_pkrtz_f16_f32 v164, v52, v53                         // 000000008178: D29600A4 00026B34
	v_cvt_pkrtz_f16_f32 v165, v54, v55                         // 000000008180: D29600A5 00026F36
	v_cvt_pkrtz_f16_f32 v166, v56, v57                         // 000000008188: D29600A6 00027338
	v_cvt_pkrtz_f16_f32 v167, v58, v59                         // 000000008190: D29600A7 0002773A
	v_cvt_pkrtz_f16_f32 v168, v60, v61                         // 000000008198: D29600A8 00027B3C
	v_cvt_pkrtz_f16_f32 v169, v62, v63                         // 0000000081A0: D29600A9 00027F3E
	v_mfma_f32_16x16x16_f16 v[96:99], v[118:119], a[90:91], v[96:99]// 0000000081A8: D3CD0060 1582B576
	v_cvt_pkrtz_f16_f32 v170, v64, v65                         // 0000000081B0: D29600AA 00028340
	v_cvt_pkrtz_f16_f32 v171, v66, v67                         // 0000000081B8: D29600AB 00028742
	v_cvt_pkrtz_f16_f32 v172, v68, v69                         // 0000000081C0: D29600AC 00028B44
	v_cvt_pkrtz_f16_f32 v173, v70, v71                         // 0000000081C8: D29600AD 00028F46
	v_cvt_pkrtz_f16_f32 v174, v72, v73                         // 0000000081D0: D29600AE 00029348
	v_cvt_pkrtz_f16_f32 v175, v74, v75                         // 0000000081D8: D29600AF 0002974A
	v_mfma_f32_16x16x16_f16 v[96:99], v[120:121], a[92:93], v[96:99]// 0000000081E0: D3CD0060 1582B978
	v_add_u32_e32 v6, s66, v6                                  // 0000000081E8: 680C0C42
	v_add_u32_e32 v7, s66, v7                                  // 0000000081EC: 680E0E42
	v_add_u32_e32 v8, s66, v8                                  // 0000000081F0: 68101042
	v_add_u32_e32 v9, s66, v9                                  // 0000000081F4: 68121242
	v_mfma_f32_16x16x16_f16 v[96:99], v[122:123], a[94:95], v[96:99]// 0000000081F8: D3CD0060 1582BD7A
	s_waitcnt lgkmcnt(0)                                       // 000000008200: BF8CC07F
	s_barrier                                                  // 000000008204: BF8A0000
	v_mfma_f32_16x16x16_f16 v[180:183], v[124:125], v[164:165], v[180:183]// 000000008208: D3CD00B4 06D3497C
	v_subrev_f32_dpp v76, v176, v76 quad_perm:[0,0,0,0] row_mask:0xf bank_mask:0xf// 000000008210: 069898FA FF0000B0
	v_subrev_f32_dpp v77, v176, v77 quad_perm:[1,1,1,1] row_mask:0xf bank_mask:0xf// 000000008218: 069A9AFA FF0055B0
	v_subrev_f32_dpp v78, v176, v78 quad_perm:[2,2,2,2] row_mask:0xf bank_mask:0xf// 000000008220: 069C9CFA FF00AAB0
	v_subrev_f32_dpp v79, v176, v79 quad_perm:[3,3,3,3] row_mask:0xf bank_mask:0xf// 000000008228: 069E9EFA FF00FFB0
	v_subrev_f32_dpp v80, v176, v80 quad_perm:[0,0,0,0] row_mask:0xf bank_mask:0xf// 000000008230: 06A0A0FA FF0000B0
	v_subrev_f32_dpp v81, v176, v81 quad_perm:[1,1,1,1] row_mask:0xf bank_mask:0xf// 000000008238: 06A2A2FA FF0055B0
	v_mfma_f32_16x16x16_f16 v[184:187], v[126:127], v[164:165], v[184:187]// 000000008240: D3CD00B8 06E3497E
	v_subrev_f32_dpp v82, v176, v82 quad_perm:[2,2,2,2] row_mask:0xf bank_mask:0xf// 000000008248: 06A4A4FA FF00AAB0
	v_subrev_f32_dpp v83, v176, v83 quad_perm:[3,3,3,3] row_mask:0xf bank_mask:0xf// 000000008250: 06A6A6FA FF00FFB0
	v_subrev_f32_dpp v84, v176, v84 quad_perm:[0,0,0,0] row_mask:0xf bank_mask:0xf// 000000008258: 06A8A8FA FF0000B0
	v_subrev_f32_dpp v85, v176, v85 quad_perm:[1,1,1,1] row_mask:0xf bank_mask:0xf// 000000008260: 06AAAAFA FF0055B0
	v_subrev_f32_dpp v86, v176, v86 quad_perm:[2,2,2,2] row_mask:0xf bank_mask:0xf// 000000008268: 06ACACFA FF00AAB0
	v_subrev_f32_dpp v87, v176, v87 quad_perm:[3,3,3,3] row_mask:0xf bank_mask:0xf// 000000008270: 06AEAEFA FF00FFB0
	v_mfma_f32_16x16x16_f16 v[188:191], v[128:129], v[164:165], v[188:191]// 000000008278: D3CD00BC 06F34980
	v_mul_f32_e32 v76, v52, v76                                // 000000008280: 0A989934
	v_mul_f32_e32 v77, v53, v77                                // 000000008284: 0A9A9B35
	v_mul_f32_e32 v78, v54, v78                                // 000000008288: 0A9C9D36
	v_mul_f32_e32 v79, v55, v79                                // 00000000828C: 0A9E9F37
	v_mul_f32_e32 v80, v56, v80                                // 000000008290: 0AA0A138
	v_mul_f32_e32 v81, v57, v81                                // 000000008294: 0AA2A339
	v_mfma_f32_16x16x16_f16 v[192:195], v[130:131], v[164:165], v[192:195]// 000000008298: D3CD00C0 07034982
	v_mul_f32_e32 v82, v58, v82                                // 0000000082A0: 0AA4A53A
	v_mul_f32_e32 v83, v59, v83                                // 0000000082A4: 0AA6A73B
	v_mul_f32_e32 v84, v60, v84                                // 0000000082A8: 0AA8A93C
	v_mul_f32_e32 v85, v61, v85                                // 0000000082AC: 0AAAAB3D
	v_mul_f32_e32 v86, v62, v86                                // 0000000082B0: 0AACAD3E
	v_mul_f32_e32 v87, v63, v87                                // 0000000082B4: 0AAEAF3F
	v_mfma_f32_16x16x16_f16 v[196:199], v[124:125], v[166:167], v[196:199]// 0000000082B8: D3CD00C4 07134D7C
	v_cvt_pkrtz_f16_f32 v76, v76, v77                          // 0000000082C0: D296004C 00029B4C
	v_cvt_pkrtz_f16_f32 v77, v78, v79                          // 0000000082C8: D296004D 00029F4E
	v_cvt_pkrtz_f16_f32 v78, v80, v81                          // 0000000082D0: D296004E 0002A350
	v_cvt_pkrtz_f16_f32 v79, v82, v83                          // 0000000082D8: D296004F 0002A752
	v_cvt_pkrtz_f16_f32 v80, v84, v85                          // 0000000082E0: D2960050 0002AB54
	v_cvt_pkrtz_f16_f32 v81, v86, v87                          // 0000000082E8: D2960051 0002AF56
	v_mfma_f32_16x16x16_f16 v[200:203], v[126:127], v[166:167], v[200:203]// 0000000082F0: D3CD00C8 07234D7E
	v_mov_b32_dpp v18, v76 quad_perm:[1,0,3,2] row_mask:0xf bank_mask:0xf// 0000000082F8: 7E2402FA FF00B14C
	v_perm_b32 v52, v18, v76, v17                              // 000000008300: D1ED0034 04469912
	v_mov_b32_dpp v18, v77 quad_perm:[1,0,3,2] row_mask:0xf bank_mask:0xf// 000000008308: 7E2402FA FF00B14D
	v_perm_b32 v53, v18, v77, v17                              // 000000008310: D1ED0035 04469B12
	v_mov_b32_dpp v18, v78 quad_perm:[1,0,3,2] row_mask:0xf bank_mask:0xf// 000000008318: 7E2402FA FF00B14E
	v_perm_b32 v54, v18, v78, v17                              // 000000008320: D1ED0036 04469D12
	v_mfma_f32_16x16x16_f16 v[204:207], v[128:129], v[166:167], v[204:207]// 000000008328: D3CD00CC 07334D80
	ds_write_b32 v20, v52 offset:17408                         // 000000008330: D81A4400 00003414
	ds_write_b32 v20, v53 offset:17952                         // 000000008338: D81A4620 00003514
	v_mfma_f32_16x16x16_f16 v[208:211], v[130:131], v[166:167], v[208:211]// 000000008340: D3CD00D0 07434D82
	v_mov_b32_dpp v18, v79 quad_perm:[1,0,3,2] row_mask:0xf bank_mask:0xf// 000000008348: 7E2402FA FF00B14F
	v_perm_b32 v55, v18, v79, v17                              // 000000008350: D1ED0037 04469F12
	v_mov_b32_dpp v18, v80 quad_perm:[1,0,3,2] row_mask:0xf bank_mask:0xf// 000000008358: 7E2402FA FF00B150
	v_perm_b32 v56, v18, v80, v17                              // 000000008360: D1ED0038 0446A112
	v_mov_b32_dpp v18, v81 quad_perm:[1,0,3,2] row_mask:0xf bank_mask:0xf// 000000008368: 7E2402FA FF00B151
	v_perm_b32 v57, v18, v81, v17                              // 000000008370: D1ED0039 0446A312
	v_mfma_f32_16x16x16_f16 v[212:215], v[124:125], v[168:169], v[212:215]// 000000008378: D3CD00D4 0753517C
	ds_write_b32 v20, v54 offset:19712                         // 000000008380: D81A4D00 00003614
	ds_write_b32 v20, v55 offset:20256                         // 000000008388: D81A4F20 00003714
	v_mfma_f32_16x16x16_f16 v[216:219], v[126:127], v[168:169], v[216:219]// 000000008390: D3CD00D8 0763517E
	v_subrev_f32_dpp v88, v177, v88 quad_perm:[0,0,0,0] row_mask:0xf bank_mask:0xf// 000000008398: 06B0B0FA FF0000B1
	v_subrev_f32_dpp v89, v177, v89 quad_perm:[1,1,1,1] row_mask:0xf bank_mask:0xf// 0000000083A0: 06B2B2FA FF0055B1
	v_subrev_f32_dpp v90, v177, v90 quad_perm:[2,2,2,2] row_mask:0xf bank_mask:0xf// 0000000083A8: 06B4B4FA FF00AAB1
	v_subrev_f32_dpp v91, v177, v91 quad_perm:[3,3,3,3] row_mask:0xf bank_mask:0xf// 0000000083B0: 06B6B6FA FF00FFB1
	v_subrev_f32_dpp v92, v177, v92 quad_perm:[0,0,0,0] row_mask:0xf bank_mask:0xf// 0000000083B8: 06B8B8FA FF0000B1
	v_subrev_f32_dpp v93, v177, v93 quad_perm:[1,1,1,1] row_mask:0xf bank_mask:0xf// 0000000083C0: 06BABAFA FF0055B1
	v_mfma_f32_16x16x16_f16 v[220:223], v[128:129], v[168:169], v[220:223]// 0000000083C8: D3CD00DC 07735180
	ds_write_b32 v20, v56 offset:22016                         // 0000000083D0: D81A5600 00003814
	ds_write_b32 v20, v57 offset:22560                         // 0000000083D8: D81A5820 00003914
	v_mfma_f32_16x16x16_f16 v[224:227], v[130:131], v[168:169], v[224:227]// 0000000083E0: D3CD00E0 07835182
	v_subrev_f32_dpp v94, v177, v94 quad_perm:[2,2,2,2] row_mask:0xf bank_mask:0xf// 0000000083E8: 06BCBCFA FF00AAB1
	v_subrev_f32_dpp v95, v177, v95 quad_perm:[3,3,3,3] row_mask:0xf bank_mask:0xf// 0000000083F0: 06BEBEFA FF00FFB1
	v_subrev_f32_dpp v96, v177, v96 quad_perm:[0,0,0,0] row_mask:0xf bank_mask:0xf// 0000000083F8: 06C0C0FA FF0000B1
	v_subrev_f32_dpp v97, v177, v97 quad_perm:[1,1,1,1] row_mask:0xf bank_mask:0xf// 000000008400: 06C2C2FA FF0055B1
	v_subrev_f32_dpp v98, v177, v98 quad_perm:[2,2,2,2] row_mask:0xf bank_mask:0xf// 000000008408: 06C4C4FA FF00AAB1
	v_subrev_f32_dpp v99, v177, v99 quad_perm:[3,3,3,3] row_mask:0xf bank_mask:0xf// 000000008410: 06C6C6FA FF00FFB1
	v_mfma_f32_16x16x16_f16 v[180:183], v[132:133], v[170:171], v[180:183]// 000000008418: D3CD00B4 06D35584
	v_mul_f32_e32 v88, v64, v88                                // 000000008420: 0AB0B140
	v_mul_f32_e32 v89, v65, v89                                // 000000008424: 0AB2B341
	v_mul_f32_e32 v90, v66, v90                                // 000000008428: 0AB4B542
	v_mul_f32_e32 v91, v67, v91                                // 00000000842C: 0AB6B743
	v_mul_f32_e32 v92, v68, v92                                // 000000008430: 0AB8B944
	v_mul_f32_e32 v93, v69, v93                                // 000000008434: 0ABABB45
	v_mfma_f32_16x16x16_f16 v[184:187], v[134:135], v[170:171], v[184:187]// 000000008438: D3CD00B8 06E35586
	v_mul_f32_e32 v94, v70, v94                                // 000000008440: 0ABCBD46
	v_mul_f32_e32 v95, v71, v95                                // 000000008444: 0ABEBF47
	v_mul_f32_e32 v96, v72, v96                                // 000000008448: 0AC0C148
	v_mul_f32_e32 v97, v73, v97                                // 00000000844C: 0AC2C349
	v_mul_f32_e32 v98, v74, v98                                // 000000008450: 0AC4C54A
	v_mul_f32_e32 v99, v75, v99                                // 000000008454: 0AC6C74B
	v_mfma_f32_16x16x16_f16 v[188:191], v[136:137], v[170:171], v[188:191]// 000000008458: D3CD00BC 06F35588
	v_cvt_pkrtz_f16_f32 v82, v88, v89                          // 000000008460: D2960052 0002B358
	v_cvt_pkrtz_f16_f32 v83, v90, v91                          // 000000008468: D2960053 0002B75A
	v_cvt_pkrtz_f16_f32 v84, v92, v93                          // 000000008470: D2960054 0002BB5C
	v_cvt_pkrtz_f16_f32 v85, v94, v95                          // 000000008478: D2960055 0002BF5E
	v_cvt_pkrtz_f16_f32 v86, v96, v97                          // 000000008480: D2960056 0002C360
	v_cvt_pkrtz_f16_f32 v87, v98, v99                          // 000000008488: D2960057 0002C762
	v_mfma_f32_16x16x16_f16 v[192:195], v[138:139], v[170:171], v[192:195]// 000000008490: D3CD00C0 0703558A
	v_mov_b32_dpp v18, v82 quad_perm:[1,0,3,2] row_mask:0xf bank_mask:0xf// 000000008498: 7E2402FA FF00B152
	v_perm_b32 v58, v18, v82, v17                              // 0000000084A0: D1ED003A 0446A512
	v_mov_b32_dpp v18, v83 quad_perm:[1,0,3,2] row_mask:0xf bank_mask:0xf// 0000000084A8: 7E2402FA FF00B153
	v_perm_b32 v59, v18, v83, v17                              // 0000000084B0: D1ED003B 0446A712
	v_mov_b32_dpp v18, v84 quad_perm:[1,0,3,2] row_mask:0xf bank_mask:0xf// 0000000084B8: 7E2402FA FF00B154
	v_perm_b32 v60, v18, v84, v17                              // 0000000084C0: D1ED003C 0446A912
	v_mfma_f32_16x16x16_f16 v[196:199], v[132:133], v[172:173], v[196:199]// 0000000084C8: D3CD00C4 07135984
	ds_write_b32 v20, v58 offset:24320                         // 0000000084D0: D81A5F00 00003A14
	ds_write_b32 v20, v59 offset:24864                         // 0000000084D8: D81A6120 00003B14
	v_mfma_f32_16x16x16_f16 v[200:203], v[134:135], v[172:173], v[200:203]// 0000000084E0: D3CD00C8 07235986
	v_mov_b32_dpp v18, v85 quad_perm:[1,0,3,2] row_mask:0xf bank_mask:0xf// 0000000084E8: 7E2402FA FF00B155
	v_perm_b32 v61, v18, v85, v17                              // 0000000084F0: D1ED003D 0446AB12
	v_mov_b32_dpp v18, v86 quad_perm:[1,0,3,2] row_mask:0xf bank_mask:0xf// 0000000084F8: 7E2402FA FF00B156
	v_perm_b32 v62, v18, v86, v17                              // 000000008500: D1ED003E 0446AD12
	v_mov_b32_dpp v18, v87 quad_perm:[1,0,3,2] row_mask:0xf bank_mask:0xf// 000000008508: 7E2402FA FF00B157
	v_perm_b32 v63, v18, v87, v17                              // 000000008510: D1ED003F 0446AF12
	v_mfma_f32_16x16x16_f16 v[204:207], v[136:137], v[172:173], v[204:207]// 000000008518: D3CD00CC 07335988
	ds_write_b32 v20, v60 offset:26624                         // 000000008520: D81A6800 00003C14
	ds_write_b32 v20, v61 offset:27168                         // 000000008528: D81A6A20 00003D14
	ds_write_b32 v20, v62 offset:28928                         // 000000008530: D81A7100 00003E14
	ds_write_b32 v20, v63 offset:29472                         // 000000008538: D81A7320 00003F14
	v_mfma_f32_16x16x16_f16 v[208:211], v[138:139], v[172:173], v[208:211]// 000000008540: D3CD00D0 0743598A
	v_mfma_f32_16x16x16_f16 v[212:215], v[132:133], v[174:175], v[212:215]// 000000008548: D3CD00D4 07535D84
	ds_write_b32 v15, v100 offset:4352                         // 000000008550: D81A1100 0000640F
	ds_write_b32 v15, v101 offset:5408                         // 000000008558: D81A1520 0000650F
	v_mfma_f32_16x16x16_f16 v[216:219], v[134:135], v[174:175], v[216:219]// 000000008560: D3CD00D8 07635D86
	v_mfma_f32_16x16x16_f16 v[220:223], v[136:137], v[174:175], v[220:223]// 000000008568: D3CD00DC 07735D88
	ds_write_b32 v15, v102 offset:6528                         // 000000008570: D81A1980 0000660F
	ds_write_b32 v15, v103 offset:7584                         // 000000008578: D81A1DA0 0000670F
	v_mfma_f32_16x16x16_f16 v[224:227], v[138:139], v[174:175], v[224:227]// 000000008580: D3CD00E0 07835D8A
	s_nop 0                                                    // 000000008588: BF800000
	s_nop 0                                                    // 00000000858C: BF800000
	s_nop 0                                                    // 000000008590: BF800000
	s_barrier                                                  // 000000008594: BF8A0000
	v_mfma_f32_16x16x16_f16 a[112:115], a[96:97], v[76:77], a[112:115]// 000000008598: D3CD8070 0DC29960
	ds_read_b32 v140, v23 offset:39936                         // 0000000085A0: D86C9C00 8C000017
	ds_read_b32 v144, v23 offset:40000                         // 0000000085A8: D86C9C40 90000017
	ds_read_b32 v176, v23 offset:40192                         // 0000000085B0: D86C9D00 B0000017
	ds_read_b32 v177, v23 offset:40256                         // 0000000085B8: D86C9D40 B1000017
	v_mfma_f32_16x16x16_f16 a[116:119], a[98:99], v[76:77], a[116:119]// 0000000085C0: D3CD8074 0DD29962
	buffer_atomic_add_f32 v156, v6, s[32:35], 0 idxen          // 0000000085C8: E1342000 80089C06
	v_mfma_f32_16x16x16_f16 a[120:123], a[100:101], v[76:77], a[120:123]// 0000000085D0: D3CD8078 0DE29964
	s_waitcnt lgkmcnt(8)                                       // 0000000085D8: BF8CC87F
	s_barrier                                                  // 0000000085DC: BF8A0000
	v_mfma_f32_16x16x16_f16 a[124:127], a[102:103], v[76:77], a[124:127]// 0000000085E0: D3CD807C 0DF29966
	v_mfma_f32_16x16x16_f16 a[128:131], a[96:97], v[78:79], a[128:131]// 0000000085E8: D3CD8080 0E029D60
	ds_read_b128 v[52:55], v19 offset:17408                    // 0000000085F0: D9FE4400 34000013
	v_mfma_f32_16x16x16_f16 a[132:135], a[98:99], v[78:79], a[132:135]// 0000000085F8: D3CD8084 0E129D62
	v_mfma_f32_16x16x16_f16 a[136:139], a[100:101], v[78:79], a[136:139]// 000000008600: D3CD8088 0E229D64
	ds_read_b128 v[56:59], v19 offset:18560                    // 000000008608: D9FE4880 38000013
	v_mfma_f32_16x16x16_f16 a[140:143], a[102:103], v[78:79], a[140:143]// 000000008610: D3CD808C 0E329D66
	buffer_atomic_add_f32 v157, v7, s[32:35], 0 idxen          // 000000008618: E1342000 80089D07
	v_mfma_f32_16x16x16_f16 a[144:147], a[96:97], v[80:81], a[144:147]// 000000008620: D3CD8090 0E42A160
	ds_read_b128 v[60:63], v19 offset:19712                    // 000000008628: D9FE4D00 3C000013
	v_mfma_f32_16x16x16_f16 a[148:151], a[98:99], v[80:81], a[148:151]// 000000008630: D3CD8094 0E52A162
	v_mfma_f32_16x16x16_f16 a[152:155], a[100:101], v[80:81], a[152:155]// 000000008638: D3CD8098 0E62A164
	ds_read_b128 v[64:67], v19 offset:20864                    // 000000008640: D9FE5180 40000013
	v_mfma_f32_16x16x16_f16 a[156:159], a[102:103], v[80:81], a[156:159]// 000000008648: D3CD809C 0E72A166
	v_mfma_f32_16x16x16_f16 a[112:115], a[104:105], v[82:83], a[112:115]// 000000008650: D3CD8070 0DC2A568
	ds_read_b128 v[68:71], v19 offset:22016                    // 000000008658: D9FE5600 44000013
	v_mfma_f32_16x16x16_f16 a[116:119], a[106:107], v[82:83], a[116:119]// 000000008660: D3CD8074 0DD2A56A
	buffer_atomic_add_f32 v158, v6, s[32:35], 0 idxen offset:128// 000000008668: E1342080 80089E06
	v_mfma_f32_16x16x16_f16 a[120:123], a[108:109], v[82:83], a[120:123]// 000000008670: D3CD8078 0DE2A56C
	ds_read_b128 v[72:75], v19 offset:23168                    // 000000008678: D9FE5A80 48000013
	v_mfma_f32_16x16x16_f16 a[124:127], a[110:111], v[82:83], a[124:127]// 000000008680: D3CD807C 0DF2A56E
	v_mfma_f32_16x16x16_f16 a[128:131], a[104:105], v[84:85], a[128:131]// 000000008688: D3CD8080 0E02A968
	ds_write_b32 v15, v104 offset:13056                        // 000000008690: D81A3300 0000680F
	v_mfma_f32_16x16x16_f16 a[132:135], a[106:107], v[84:85], a[132:135]// 000000008698: D3CD8084 0E12A96A
	v_mfma_f32_16x16x16_f16 a[136:139], a[108:109], v[84:85], a[136:139]// 0000000086A0: D3CD8088 0E22A96C
	ds_write_b32 v15, v105 offset:14112                        // 0000000086A8: D81A3720 0000690F
	v_mfma_f32_16x16x16_f16 a[140:143], a[110:111], v[84:85], a[140:143]// 0000000086B0: D3CD808C 0E32A96E
	buffer_atomic_add_f32 v159, v7, s[32:35], 0 idxen offset:128// 0000000086B8: E1342080 80089F07
	v_mfma_f32_16x16x16_f16 a[144:147], a[104:105], v[86:87], a[144:147]// 0000000086C0: D3CD8090 0E42AD68
	ds_write_b32 v15, v106 offset:15232                        // 0000000086C8: D81A3B80 00006A0F
	v_mfma_f32_16x16x16_f16 a[148:151], a[106:107], v[86:87], a[148:151]// 0000000086D0: D3CD8094 0E52AD6A
	v_mfma_f32_16x16x16_f16 a[152:155], a[108:109], v[86:87], a[152:155]// 0000000086D8: D3CD8098 0E62AD6C
	ds_write_b32 v15, v107 offset:16288                        // 0000000086E0: D81A3FA0 00006B0F
	v_mfma_f32_16x16x16_f16 a[156:159], a[110:111], v[86:87], a[156:159]// 0000000086E8: D3CD809C 0E72AD6E
	s_waitcnt vmcnt(8) lgkmcnt(4)                              // 0000000086F0: BF8C0478
	s_barrier                                                  // 0000000086F4: BF8A0000
	v_mfma_f32_16x16x16_f16 v[148:151], v[52:53], a[24:25], 0  // 0000000086F8: D3CD0094 12023134
	ds_read_b128 a[96:99], v12                                 // 000000008700: DBFE0000 6000000C
	buffer_load_dword v40, v1, s[8:11], 0 idxen                // 000000008708: E0502000 80022801
	v_mfma_f32_16x16x16_f16 v[148:151], v[54:55], a[28:29], v[148:151]// 000000008710: D3CD0094 16523936
	v_mul_f32_e32 v140, s48, v140                              // 000000008718: 0B191830
	v_mul_f32_e32 v144, s48, v144                              // 00000000871C: 0B212030
	s_nop 0                                                    // 000000008720: BF800000
	v_mfma_f32_16x16x16_f16 v[148:151], v[56:57], a[32:33], v[148:151]// 000000008724: D3CD0094 16524138
	ds_read_b128 a[100:103], v12 offset:512                    // 00000000872C: DBFE0200 6400000C
	buffer_load_dword v41, v2, s[8:11], 0 idxen                // 000000008734: E0502000 80022902
	v_mfma_f32_16x16x16_f16 v[148:151], v[58:59], a[36:37], v[148:151]// 00000000873C: D3CD0094 1652493A
	v_mfma_f32_16x16x16_f16 v[148:151], v[60:61], a[40:41], v[148:151]// 000000008744: D3CD0094 1652513C
	ds_read_b128 a[104:107], v12 offset:2176                   // 00000000874C: DBFE0880 6800000C
	buffer_load_dword v42, v3, s[8:11], 0 idxen                // 000000008754: E0502000 80022A03
	v_mfma_f32_16x16x16_f16 v[148:151], v[62:63], a[44:45], v[148:151]// 00000000875C: D3CD0094 1652593E
	v_perm_b32 v100, v37, v36, s63                             // 000000008764: D1ED0064 00FE4925
	v_perm_b32 v101, v37, v36, s64                             // 00000000876C: D1ED0065 01024925
	v_mfma_f32_16x16x16_f16 v[148:151], v[64:65], a[48:49], v[148:151]// 000000008774: D3CD0094 16526140
	ds_read_b128 a[108:111], v12 offset:2688                   // 00000000877C: DBFE0A80 6C00000C
	buffer_load_dword v43, v4, s[8:11], 0 idxen                // 000000008784: E0502000 80022B04
	v_mfma_f32_16x16x16_f16 v[148:151], v[66:67], a[52:53], v[148:151]// 00000000878C: D3CD0094 16526942
	v_perm_b32 v102, v39, v38, s63                             // 000000008794: D1ED0066 00FE4D27
	v_perm_b32 v103, v39, v38, s64                             // 00000000879C: D1ED0067 01024D27
	v_mfma_f32_16x16x16_f16 v[148:151], v[68:69], a[56:57], v[148:151]// 0000000087A4: D3CD0094 16527144
	ds_read_b128 v[108:111], v12 offset:8704                   // 0000000087AC: D9FE2200 6C00000C
	buffer_load_dword v48, v228, s[20:23], 0 idxen             // 0000000087B4: E0502000 800530E4
	v_mfma_f32_16x16x16_f16 v[148:151], v[70:71], a[60:61], v[148:151]// 0000000087BC: D3CD0094 16527946
	v_perm_b32 v104, v45, v44, s63                             // 0000000087C4: D1ED0068 00FE592D
	v_perm_b32 v105, v45, v44, s64                             // 0000000087CC: D1ED0069 0102592D
	v_mfma_f32_16x16x16_f16 v[148:151], v[72:73], a[64:65], v[148:151]// 0000000087D4: D3CD0094 16528148
	ds_read_b128 v[112:115], v12 offset:9216                   // 0000000087DC: D9FE2400 7000000C
	buffer_load_dword v49, v229, s[20:23], 0 idxen             // 0000000087E4: E0502000 800531E5
	v_mfma_f32_16x16x16_f16 v[148:151], v[74:75], a[68:69], v[148:151]// 0000000087EC: D3CD0094 1652894A
	v_perm_b32 v106, v47, v46, s63                             // 0000000087F4: D1ED006A 00FE5D2F
	v_perm_b32 v107, v47, v46, s64                             // 0000000087FC: D1ED006B 01025D2F
	v_mfma_f32_16x16x16_f16 v[152:155], v[52:53], a[26:27], 0  // 000000008804: D3CD0098 12023534
	ds_read_b128 v[116:119], v12 offset:10880                  // 00000000880C: D9FE2A80 7400000C
	buffer_load_dword v50, v230, s[20:23], 0 idxen             // 000000008814: E0502000 800532E6
	v_mfma_f32_16x16x16_f16 v[152:155], v[54:55], a[30:31], v[152:155]// 00000000881C: D3CD0098 16623D36
	v_mov_b32_dpp v143, v140 quad_perm:[3,3,3,3] row_mask:0xf bank_mask:0xf// 000000008824: 7F1E02FA FF00FF8C
	v_mov_b32_dpp v142, v140 quad_perm:[2,2,2,2] row_mask:0xf bank_mask:0xf// 00000000882C: 7F1C02FA FF00AA8C
	v_mov_b32_dpp v141, v140 quad_perm:[1,1,1,1] row_mask:0xf bank_mask:0xf// 000000008834: 7F1A02FA FF00558C
	v_mov_b32_dpp v140, v140 quad_perm:[0,0,0,0] row_mask:0xf bank_mask:0xf// 00000000883C: 7F1802FA FF00008C
	v_mfma_f32_16x16x16_f16 v[152:155], v[56:57], a[34:35], v[152:155]// 000000008844: D3CD0098 16624538
	ds_read_b128 v[120:123], v12 offset:11392                  // 00000000884C: D9FE2C80 7800000C
	buffer_load_dword v51, v231, s[20:23], 0 idxen             // 000000008854: E0502000 800533E7
	v_mfma_f32_16x16x16_f16 v[152:155], v[58:59], a[38:39], v[152:155]// 00000000885C: D3CD0098 16624D3A
	v_mov_b32_dpp v147, v144 quad_perm:[3,3,3,3] row_mask:0xf bank_mask:0xf// 000000008864: 7F2602FA FF00FF90
	v_mov_b32_dpp v146, v144 quad_perm:[2,2,2,2] row_mask:0xf bank_mask:0xf// 00000000886C: 7F2402FA FF00AA90
	v_mov_b32_dpp v145, v144 quad_perm:[1,1,1,1] row_mask:0xf bank_mask:0xf// 000000008874: 7F2202FA FF005590
	v_mov_b32_dpp v144, v144 quad_perm:[0,0,0,0] row_mask:0xf bank_mask:0xf// 00000000887C: 7F2002FA FF000090
	s_add_u32 s60, 0x80, s59                                   // 000000008884: 803C3BFF 00000080
	v_mfma_f32_16x16x16_f16 v[152:155], v[60:61], a[42:43], v[152:155]// 00000000888C: D3CD0098 1662553C
	buffer_load_dword v11, s[24:27], 0 idxen lds               // 000000008894: E0512000 8006000B
	v_mfma_f32_16x16x16_f16 v[152:155], v[62:63], a[46:47], v[152:155]// 00000000889C: D3CD0098 16625D3E
	s_cmp_lt_u32 s60, s58                                      // 0000000088A4: BF0A3A3C
	s_cselect_b32 s68, s68, 0                                  // 0000000088A8: 85448044
	s_cselect_b32 s99, s99, 0                                  // 0000000088AC: 85638063
	s_cselect_b32 s69, s69, 0                                  // 0000000088B0: 85458045
	v_mfma_f32_16x16x16_f16 v[152:155], v[64:65], a[50:51], v[152:155]// 0000000088B4: D3CD0098 16626540
	v_add_u32_e32 v1, s68, v1                                  // 0000000088BC: 68020244
	v_add_u32_e32 v2, s68, v2                                  // 0000000088C0: 68040444
	v_add_u32_e32 v3, s68, v3                                  // 0000000088C4: 68060644
	v_add_u32_e32 v4, s68, v4                                  // 0000000088C8: 68080844
	v_mfma_f32_16x16x16_f16 v[152:155], v[66:67], a[54:55], v[152:155]// 0000000088CC: D3CD0098 16626D42
	v_add_u32_e32 v228, s99, v228                              // 0000000088D4: 69C9C863
	v_add_u32_e32 v229, s99, v229                              // 0000000088D8: 69CBCA63
	v_add_u32_e32 v230, s99, v230                              // 0000000088DC: 69CDCC63
	v_add_u32_e32 v231, s99, v231                              // 0000000088E0: 69CFCE63
	v_mfma_f32_16x16x16_f16 v[152:155], v[68:69], a[58:59], v[152:155]// 0000000088E4: D3CD0098 16627544
	s_mov_b32 m0, s78                                          // 0000000088EC: BEFC004E
	v_add_u32_e32 v11, s69, v11                                // 0000000088F0: 68161645
	v_mfma_f32_16x16x16_f16 v[152:155], v[70:71], a[62:63], v[152:155]// 0000000088F4: D3CD0098 16627D46
	s_cmp_ge_u32 s59, s73                                      // 0000000088FC: BF09493B
	s_cselect_b32 s66, s67, s66                                // 000000008900: 85424243
	v_mfma_f32_16x16x16_f16 v[152:155], v[72:73], a[66:67], v[152:155]// 000000008904: D3CD0098 16628548
	s_addk_i32 s59, 0x20                                       // 00000000890C: B73B0020
	s_nop 0                                                    // 000000008910: BF800000
	s_cmp_lt_i32 s59, s58                                      // 000000008914: BF043A3B
	v_mfma_f32_16x16x16_f16 v[152:155], v[74:75], a[70:71], v[152:155]// 000000008918: D3CD0098 16628D4A
	s_cbranch_scc0 label_0EAE                                  // 000000008920: BF84FBD3
	s_waitcnt lgkmcnt(0)                                       // 000000008924: BF8CC07F
	s_barrier                                                  // 000000008928: BF8A0000
	v_mfma_f32_16x16x16_f16 v[52:55], a[96:97], a[0:1], 0      // 00000000892C: D3CD0034 1A020160
	v_mul_f32_e32 v148, s47, v148                              // 000000008934: 0B29282F
	v_mul_f32_e32 v149, s47, v149                              // 000000008938: 0B2B2A2F
	v_mfma_f32_16x16x16_f16 v[52:55], a[98:99], a[2:3], v[52:55]// 00000000893C: D3CD0034 1CD20562
	ds_write_b32 v13, v44 offset:8704                          // 000000008944: D81A2200 00002C0D
	ds_write_b32 v13, v45 offset:9760                          // 00000000894C: D81A2620 00002D0D
	v_mfma_f32_16x16x16_f16 v[52:55], a[100:101], a[4:5], v[52:55]// 000000008954: D3CD0034 1CD20964
	v_mul_f32_e32 v150, s47, v150                              // 00000000895C: 0B2D2C2F
	v_mul_f32_e32 v151, s47, v151                              // 000000008960: 0B2F2E2F
	v_mfma_f32_16x16x16_f16 v[52:55], a[102:103], a[6:7], v[52:55]// 000000008964: D3CD0034 1CD20D66
	ds_write_b32 v13, v46 offset:10880                         // 00000000896C: D81A2A80 00002E0D
	ds_write_b32 v13, v47 offset:11936                         // 000000008974: D81A2EA0 00002F0D
	v_mfma_f32_16x16x16_f16 v[56:59], a[96:97], a[8:9], 0      // 00000000897C: D3CD0038 1A021160
	v_mul_f32_e32 v152, s47, v152                              // 000000008984: 0B31302F
	v_mul_f32_e32 v153, s47, v153                              // 000000008988: 0B33322F
	v_mfma_f32_16x16x16_f16 v[56:59], a[98:99], a[10:11], v[56:59]// 00000000898C: D3CD0038 1CE21562
	ds_write_b64 v22, v[148:149] offset:31232                  // 000000008994: D89A7A00 00009416
	v_mfma_f32_16x16x16_f16 v[56:59], a[100:101], a[12:13], v[56:59]// 00000000899C: D3CD0038 1CE21964
	v_mul_f32_e32 v154, s47, v154                              // 0000000089A4: 0B35342F
	v_mul_f32_e32 v155, s47, v155                              // 0000000089A8: 0B37362F
	v_mfma_f32_16x16x16_f16 v[56:59], a[102:103], a[14:15], v[56:59]// 0000000089AC: D3CD0038 1CE21D66
	ds_write_b64 v22, v[150:151] offset:31744                  // 0000000089B4: D89A7C00 00009616
	v_mfma_f32_16x16x16_f16 v[60:63], a[96:97], a[16:17], 0    // 0000000089BC: D3CD003C 1A022160
	buffer_atomic_add_f32 v160, v8, s[32:35], 0 idxen          // 0000000089C4: E1342000 8008A008
	v_mfma_f32_16x16x16_f16 v[60:63], a[98:99], a[18:19], v[60:63]// 0000000089CC: D3CD003C 1CF22562
	ds_write_b64 v22, v[152:153] offset:32256                  // 0000000089D4: D89A7E00 00009816
	v_mfma_f32_16x16x16_f16 v[60:63], a[100:101], a[20:21], v[60:63]// 0000000089DC: D3CD003C 1CF22964
	v_mfma_f32_16x16x16_f16 v[60:63], a[102:103], a[22:23], v[60:63]// 0000000089E4: D3CD003C 1CF22D66
	ds_write_b64 v22, v[154:155] offset:32768                  // 0000000089EC: D89A8000 00009A16
	v_mfma_f32_16x16x16_f16 v[64:67], a[104:105], a[0:1], 0    // 0000000089F4: D3CD0040 1A020168
	buffer_atomic_add_f32 v161, v9, s[32:35], 0 idxen          // 0000000089FC: E1342000 8008A109
	v_mfma_f32_16x16x16_f16 v[64:67], a[106:107], a[2:3], v[64:67]// 000000008A04: D3CD0040 1D02056A
	ds_read_b128 v[124:127], v14 offset:13056                  // 000000008A0C: D9FE3300 7C00000E
	ds_write_b32 v13, v36                                      // 000000008A14: D81A0000 0000240D
	v_mfma_f32_16x16x16_f16 v[64:67], a[108:109], a[4:5], v[64:67]// 000000008A1C: D3CD0040 1D02096C
	v_mfma_f32_16x16x16_f16 v[64:67], a[110:111], a[6:7], v[64:67]// 000000008A24: D3CD0040 1D020D6E
	v_mfma_f32_16x16x16_f16 v[68:71], a[104:105], a[8:9], 0    // 000000008A2C: D3CD0044 1A021168
	ds_read_b128 v[128:131], v14 offset:13568                  // 000000008A34: D9FE3500 8000000E
	ds_write_b32 v13, v37 offset:1056                          // 000000008A3C: D81A0420 0000250D
	v_mfma_f32_16x16x16_f16 v[68:71], a[106:107], a[10:11], v[68:71]// 000000008A44: D3CD0044 1D12156A
	buffer_atomic_add_f32 v162, v8, s[32:35], 0 idxen offset:128// 000000008A4C: E1342080 8008A208
	v_mfma_f32_16x16x16_f16 v[68:71], a[108:109], a[12:13], v[68:71]// 000000008A54: D3CD0044 1D12196C
	v_mfma_f32_16x16x16_f16 v[68:71], a[110:111], a[14:15], v[68:71]// 000000008A5C: D3CD0044 1D121D6E
	ds_read_b128 v[132:135], v14 offset:15232                  // 000000008A64: D9FE3B80 8400000E
	ds_write_b32 v13, v38 offset:2176                          // 000000008A6C: D81A0880 0000260D
	v_mfma_f32_16x16x16_f16 v[72:75], a[104:105], a[16:17], 0  // 000000008A74: D3CD0048 1A022168
	v_mfma_f32_16x16x16_f16 v[72:75], a[106:107], a[18:19], v[72:75]// 000000008A7C: D3CD0048 1D22256A
	buffer_atomic_add_f32 v163, v9, s[32:35], 0 idxen offset:128// 000000008A84: E1342080 8008A309
	v_mfma_f32_16x16x16_f16 v[72:75], a[108:109], a[20:21], v[72:75]// 000000008A8C: D3CD0048 1D22296C
	ds_read_b128 v[136:139], v14 offset:15744                  // 000000008A94: D9FE3D80 8800000E
	ds_write_b32 v13, v39 offset:3232                          // 000000008A9C: D81A0CA0 0000270D
	v_mfma_f32_16x16x16_f16 v[72:75], a[110:111], a[22:23], v[72:75]// 000000008AA4: D3CD0048 1D222D6E
	s_cmp_lt_i32 s74, 12                                       // 000000008AAC: BF048C4A
	s_cbranch_scc0 label_142E                                  // 000000008AB0: BF8400E6
	s_mov_b32 s60, 0xffe0fffe                                  // 000000008AB4: BEBC00FF FFE0FFFE
	s_mov_b32 s61, 0xe000fe00                                  // 000000008ABC: BEBD00FF E000FE00
	s_nop 0                                                    // 000000008AC4: BF800000
	s_add_u32 s62, 0, s46                                      // 000000008AC8: 803E2E80
	s_cmp_lt_i32 s74, s62                                      // 000000008ACC: BF043E4A
	s_cbranch_scc1 label_1378                                  // 000000008AD0: BF850028
	s_cmp_eq_i32 s74, s62                                      // 000000008AD4: BF003E4A
	s_cbranch_scc1 label_135D                                  // 000000008AD8: BF85000B
	s_add_u32 s62, 4, s46                                      // 000000008ADC: 803E2E84
	s_cmp_lt_i32 s74, s62                                      // 000000008AE0: BF043E4A
	s_cbranch_scc1 label_1398                                  // 000000008AE4: BF850043
	s_cmp_eq_i32 s74, s62                                      // 000000008AE8: BF003E4A
	s_cbranch_scc1 label_137D                                  // 000000008AEC: BF850026
	s_add_u32 s62, 8, s46                                      // 000000008AF0: 803E2E88
	s_cmp_lt_i32 s74, s62                                      // 000000008AF4: BF043E4A
	s_cbranch_scc1 label_13B8                                  // 000000008AF8: BF85005E
	s_cmp_eq_i32 s74, s62                                      // 000000008AFC: BF003E4A
	s_cbranch_scc1 label_139D                                  // 000000008B00: BF850041
	s_branch label_13BD                                        // 000000008B04: BF820060

0000000000008b08 <label_135D>:
	v_cndmask_b32_e64 v52, v52, v178, s[60:61]                 // 000000008B08: D1000034 00F36534
	s_lshl_b32 s60, s60, 1                                     // 000000008B10: 8E3C813C
	s_lshl_b32 s61, s61, 1                                     // 000000008B14: 8E3D813D
	s_and_b32 s60, 0xfffeffff, s60                             // 000000008B18: 863C3CFF FFFEFFFF
	s_and_b32 s61, 0xfffeffff, s61                             // 000000008B20: 863D3DFF FFFEFFFF
	v_cndmask_b32_e64 v53, v53, v178, s[60:61]                 // 000000008B28: D1000035 00F36535
	s_lshl_b32 s60, s60, 1                                     // 000000008B30: 8E3C813C
	s_lshl_b32 s61, s61, 1                                     // 000000008B34: 8E3D813D
	s_and_b32 s60, 0xfffeffff, s60                             // 000000008B38: 863C3CFF FFFEFFFF
	s_and_b32 s61, 0xfffeffff, s61                             // 000000008B40: 863D3DFF FFFEFFFF
	v_cndmask_b32_e64 v54, v54, v178, s[60:61]                 // 000000008B48: D1000036 00F36536
	s_lshl_b32 s60, s60, 1                                     // 000000008B50: 8E3C813C
	s_lshl_b32 s61, s61, 1                                     // 000000008B54: 8E3D813D
	s_and_b32 s60, 0xfffeffff, s60                             // 000000008B58: 863C3CFF FFFEFFFF
	s_and_b32 s61, 0xfffeffff, s61                             // 000000008B60: 863D3DFF FFFEFFFF
	v_cndmask_b32_e64 v55, v55, v178, s[60:61]                 // 000000008B68: D1000037 00F36537
	s_branch label_1398                                        // 000000008B70: BF820020

0000000000008b74 <label_1378>:
	v_mov_b32_e32 v52, v178                                    // 000000008B74: 7E6803B2
	v_mov_b32_e32 v53, v178                                    // 000000008B78: 7E6A03B2
	v_mov_b32_e32 v54, v178                                    // 000000008B7C: 7E6C03B2
	v_mov_b32_e32 v55, v178                                    // 000000008B80: 7E6E03B2
	s_branch label_1398                                        // 000000008B84: BF82001B

0000000000008b88 <label_137D>:
	v_cndmask_b32_e64 v56, v56, v178, s[60:61]                 // 000000008B88: D1000038 00F36538
	s_lshl_b32 s60, s60, 1                                     // 000000008B90: 8E3C813C
	s_lshl_b32 s61, s61, 1                                     // 000000008B94: 8E3D813D
	s_and_b32 s60, 0xfffeffff, s60                             // 000000008B98: 863C3CFF FFFEFFFF
	s_and_b32 s61, 0xfffeffff, s61                             // 000000008BA0: 863D3DFF FFFEFFFF
	v_cndmask_b32_e64 v57, v57, v178, s[60:61]                 // 000000008BA8: D1000039 00F36539
	s_lshl_b32 s60, s60, 1                                     // 000000008BB0: 8E3C813C
	s_lshl_b32 s61, s61, 1                                     // 000000008BB4: 8E3D813D
	s_and_b32 s60, 0xfffeffff, s60                             // 000000008BB8: 863C3CFF FFFEFFFF
	s_and_b32 s61, 0xfffeffff, s61                             // 000000008BC0: 863D3DFF FFFEFFFF
	v_cndmask_b32_e64 v58, v58, v178, s[60:61]                 // 000000008BC8: D100003A 00F3653A
	s_lshl_b32 s60, s60, 1                                     // 000000008BD0: 8E3C813C
	s_lshl_b32 s61, s61, 1                                     // 000000008BD4: 8E3D813D
	s_and_b32 s60, 0xfffeffff, s60                             // 000000008BD8: 863C3CFF FFFEFFFF
	s_and_b32 s61, 0xfffeffff, s61                             // 000000008BE0: 863D3DFF FFFEFFFF
	v_cndmask_b32_e64 v59, v59, v178, s[60:61]                 // 000000008BE8: D100003B 00F3653B
	s_branch label_13B8                                        // 000000008BF0: BF820020

0000000000008bf4 <label_1398>:
	v_mov_b32_e32 v56, v178                                    // 000000008BF4: 7E7003B2
	v_mov_b32_e32 v57, v178                                    // 000000008BF8: 7E7203B2
	v_mov_b32_e32 v58, v178                                    // 000000008BFC: 7E7403B2
	v_mov_b32_e32 v59, v178                                    // 000000008C00: 7E7603B2
	s_branch label_13B8                                        // 000000008C04: BF82001B

0000000000008c08 <label_139D>:
	v_cndmask_b32_e64 v60, v60, v178, s[60:61]                 // 000000008C08: D100003C 00F3653C
	s_lshl_b32 s60, s60, 1                                     // 000000008C10: 8E3C813C
	s_lshl_b32 s61, s61, 1                                     // 000000008C14: 8E3D813D
	s_and_b32 s60, 0xfffeffff, s60                             // 000000008C18: 863C3CFF FFFEFFFF
	s_and_b32 s61, 0xfffeffff, s61                             // 000000008C20: 863D3DFF FFFEFFFF
	v_cndmask_b32_e64 v61, v61, v178, s[60:61]                 // 000000008C28: D100003D 00F3653D
	s_lshl_b32 s60, s60, 1                                     // 000000008C30: 8E3C813C
	s_lshl_b32 s61, s61, 1                                     // 000000008C34: 8E3D813D
	s_and_b32 s60, 0xfffeffff, s60                             // 000000008C38: 863C3CFF FFFEFFFF
	s_and_b32 s61, 0xfffeffff, s61                             // 000000008C40: 863D3DFF FFFEFFFF
	v_cndmask_b32_e64 v62, v62, v178, s[60:61]                 // 000000008C48: D100003E 00F3653E
	s_lshl_b32 s60, s60, 1                                     // 000000008C50: 8E3C813C
	s_lshl_b32 s61, s61, 1                                     // 000000008C54: 8E3D813D
	s_and_b32 s60, 0xfffeffff, s60                             // 000000008C58: 863C3CFF FFFEFFFF
	s_and_b32 s61, 0xfffeffff, s61                             // 000000008C60: 863D3DFF FFFEFFFF
	v_cndmask_b32_e64 v63, v63, v178, s[60:61]                 // 000000008C68: D100003F 00F3653F
	s_branch label_13BD                                        // 000000008C70: BF820005

0000000000008c74 <label_13B8>:
	v_mov_b32_e32 v60, v178                                    // 000000008C74: 7E7803B2
	v_mov_b32_e32 v61, v178                                    // 000000008C78: 7E7A03B2
	v_mov_b32_e32 v62, v178                                    // 000000008C7C: 7E7C03B2
	v_mov_b32_e32 v63, v178                                    // 000000008C80: 7E7E03B2
	s_branch label_13BD                                        // 000000008C84: BF820000

0000000000008c88 <label_13BD>:
	s_addk_i32 s74, 0x1                                        // 000000008C88: B74A0001
	s_add_u32 s62, 0, s46                                      // 000000008C8C: 803E2E80
	s_cmp_lt_i32 s74, s62                                      // 000000008C90: BF043E4A
	s_cbranch_scc1 label_13E9                                  // 000000008C94: BF850028
	s_cmp_eq_i32 s74, s62                                      // 000000008C98: BF003E4A
	s_cbranch_scc1 label_13CE                                  // 000000008C9C: BF85000B
	s_add_u32 s62, 4, s46                                      // 000000008CA0: 803E2E84
	s_cmp_lt_i32 s74, s62                                      // 000000008CA4: BF043E4A
	s_cbranch_scc1 label_1409                                  // 000000008CA8: BF850043
	s_cmp_eq_i32 s74, s62                                      // 000000008CAC: BF003E4A
	s_cbranch_scc1 label_13EE                                  // 000000008CB0: BF850026
	s_add_u32 s62, 8, s46                                      // 000000008CB4: 803E2E88
	s_cmp_lt_i32 s74, s62                                      // 000000008CB8: BF043E4A
	s_cbranch_scc1 label_1429                                  // 000000008CBC: BF85005E
	s_cmp_eq_i32 s74, s62                                      // 000000008CC0: BF003E4A
	s_cbranch_scc1 label_140E                                  // 000000008CC4: BF850041
	s_branch label_142E                                        // 000000008CC8: BF820060

0000000000008ccc <label_13CE>:
	v_cndmask_b32_e64 v64, v64, v178, s[60:61]                 // 000000008CCC: D1000040 00F36540
	s_lshl_b32 s60, s60, 1                                     // 000000008CD4: 8E3C813C
	s_lshl_b32 s61, s61, 1                                     // 000000008CD8: 8E3D813D
	s_and_b32 s60, 0xfffeffff, s60                             // 000000008CDC: 863C3CFF FFFEFFFF
	s_and_b32 s61, 0xfffeffff, s61                             // 000000008CE4: 863D3DFF FFFEFFFF
	v_cndmask_b32_e64 v65, v65, v178, s[60:61]                 // 000000008CEC: D1000041 00F36541
	s_lshl_b32 s60, s60, 1                                     // 000000008CF4: 8E3C813C
	s_lshl_b32 s61, s61, 1                                     // 000000008CF8: 8E3D813D
	s_and_b32 s60, 0xfffeffff, s60                             // 000000008CFC: 863C3CFF FFFEFFFF
	s_and_b32 s61, 0xfffeffff, s61                             // 000000008D04: 863D3DFF FFFEFFFF
	v_cndmask_b32_e64 v66, v66, v178, s[60:61]                 // 000000008D0C: D1000042 00F36542
	s_lshl_b32 s60, s60, 1                                     // 000000008D14: 8E3C813C
	s_lshl_b32 s61, s61, 1                                     // 000000008D18: 8E3D813D
	s_and_b32 s60, 0xfffeffff, s60                             // 000000008D1C: 863C3CFF FFFEFFFF
	s_and_b32 s61, 0xfffeffff, s61                             // 000000008D24: 863D3DFF FFFEFFFF
	v_cndmask_b32_e64 v67, v67, v178, s[60:61]                 // 000000008D2C: D1000043 00F36543
	s_branch label_1409                                        // 000000008D34: BF820020

0000000000008d38 <label_13E9>:
	v_mov_b32_e32 v64, v178                                    // 000000008D38: 7E8003B2
	v_mov_b32_e32 v65, v178                                    // 000000008D3C: 7E8203B2
	v_mov_b32_e32 v66, v178                                    // 000000008D40: 7E8403B2
	v_mov_b32_e32 v67, v178                                    // 000000008D44: 7E8603B2
	s_branch label_1409                                        // 000000008D48: BF82001B

0000000000008d4c <label_13EE>:
	v_cndmask_b32_e64 v68, v68, v178, s[60:61]                 // 000000008D4C: D1000044 00F36544
	s_lshl_b32 s60, s60, 1                                     // 000000008D54: 8E3C813C
	s_lshl_b32 s61, s61, 1                                     // 000000008D58: 8E3D813D
	s_and_b32 s60, 0xfffeffff, s60                             // 000000008D5C: 863C3CFF FFFEFFFF
	s_and_b32 s61, 0xfffeffff, s61                             // 000000008D64: 863D3DFF FFFEFFFF
	v_cndmask_b32_e64 v69, v69, v178, s[60:61]                 // 000000008D6C: D1000045 00F36545
	s_lshl_b32 s60, s60, 1                                     // 000000008D74: 8E3C813C
	s_lshl_b32 s61, s61, 1                                     // 000000008D78: 8E3D813D
	s_and_b32 s60, 0xfffeffff, s60                             // 000000008D7C: 863C3CFF FFFEFFFF
	s_and_b32 s61, 0xfffeffff, s61                             // 000000008D84: 863D3DFF FFFEFFFF
	v_cndmask_b32_e64 v70, v70, v178, s[60:61]                 // 000000008D8C: D1000046 00F36546
	s_lshl_b32 s60, s60, 1                                     // 000000008D94: 8E3C813C
	s_lshl_b32 s61, s61, 1                                     // 000000008D98: 8E3D813D
	s_and_b32 s60, 0xfffeffff, s60                             // 000000008D9C: 863C3CFF FFFEFFFF
	s_and_b32 s61, 0xfffeffff, s61                             // 000000008DA4: 863D3DFF FFFEFFFF
	v_cndmask_b32_e64 v71, v71, v178, s[60:61]                 // 000000008DAC: D1000047 00F36547
	s_branch label_1429                                        // 000000008DB4: BF820020

0000000000008db8 <label_1409>:
	v_mov_b32_e32 v68, v178                                    // 000000008DB8: 7E8803B2
	v_mov_b32_e32 v69, v178                                    // 000000008DBC: 7E8A03B2
	v_mov_b32_e32 v70, v178                                    // 000000008DC0: 7E8C03B2
	v_mov_b32_e32 v71, v178                                    // 000000008DC4: 7E8E03B2
	s_branch label_1429                                        // 000000008DC8: BF82001B

0000000000008dcc <label_140E>:
	v_cndmask_b32_e64 v72, v72, v178, s[60:61]                 // 000000008DCC: D1000048 00F36548
	s_lshl_b32 s60, s60, 1                                     // 000000008DD4: 8E3C813C
	s_lshl_b32 s61, s61, 1                                     // 000000008DD8: 8E3D813D
	s_and_b32 s60, 0xfffeffff, s60                             // 000000008DDC: 863C3CFF FFFEFFFF
	s_and_b32 s61, 0xfffeffff, s61                             // 000000008DE4: 863D3DFF FFFEFFFF
	v_cndmask_b32_e64 v73, v73, v178, s[60:61]                 // 000000008DEC: D1000049 00F36549
	s_lshl_b32 s60, s60, 1                                     // 000000008DF4: 8E3C813C
	s_lshl_b32 s61, s61, 1                                     // 000000008DF8: 8E3D813D
	s_and_b32 s60, 0xfffeffff, s60                             // 000000008DFC: 863C3CFF FFFEFFFF
	s_and_b32 s61, 0xfffeffff, s61                             // 000000008E04: 863D3DFF FFFEFFFF
	v_cndmask_b32_e64 v74, v74, v178, s[60:61]                 // 000000008E0C: D100004A 00F3654A
	s_lshl_b32 s60, s60, 1                                     // 000000008E14: 8E3C813C
	s_lshl_b32 s61, s61, 1                                     // 000000008E18: 8E3D813D
	s_and_b32 s60, 0xfffeffff, s60                             // 000000008E1C: 863C3CFF FFFEFFFF
	s_and_b32 s61, 0xfffeffff, s61                             // 000000008E24: 863D3DFF FFFEFFFF
	v_cndmask_b32_e64 v75, v75, v178, s[60:61]                 // 000000008E2C: D100004B 00F3654B
	s_branch label_142E                                        // 000000008E34: BF820005

0000000000008e38 <label_1429>:
	v_mov_b32_e32 v72, v178                                    // 000000008E38: 7E9003B2
	v_mov_b32_e32 v73, v178                                    // 000000008E3C: 7E9203B2
	v_mov_b32_e32 v74, v178                                    // 000000008E40: 7E9403B2
	v_mov_b32_e32 v75, v178                                    // 000000008E44: 7E9603B2
	s_branch label_142E                                        // 000000008E48: BF820000

0000000000008e4c <label_142E>:
	s_cmp_lt_i32 s101, 0xc0                                    // 000000008E4C: BF04FF65 000000C0
	s_cbranch_scc0 label_14A7                                  // 000000008E54: BF84006D
	s_cmp_le_i32 s101, 64                                      // 000000008E58: BF05C065
	s_cbranch_scc1 label_143A                                  // 000000008E5C: BF850007
	s_cmp_le_i32 s101, 0x80                                    // 000000008E60: BF05FF65 00000080
	s_cbranch_scc1 label_145E                                  // 000000008E68: BF85001F
	s_cmp_lt_i32 s101, 0xc0                                    // 000000008E6C: BF04FF65 000000C0
	s_cbranch_scc1 label_1482                                  // 000000008E74: BF850040
	s_branch label_14A7                                        // 000000008E78: BF820064

0000000000008e7c <label_143A>:
	s_mov_b32 s60, 0                                           // 000000008E7C: BEBC0080
	v_and_b32_e32 v32, 15, v0                                  // 000000008E80: 2640008F
	v_add_u32_e64 v32, v32, s60                                // 000000008E84: D1340020 00007920
	v_mul_i32_i24_e64 v33, s46, 16                             // 000000008E8C: D1060021 0001202E
	v_add_u32_e32 v32, v32, v33                                // 000000008E94: 68404320
	v_cmp_lt_u32_e64 s[60:61], v32, s101                       // 000000008E98: D0C9003C 0000CB20
	s_nop 1                                                    // 000000008EA0: BF800001
	v_cndmask_b32_e64 v52, v178, v52, s[60:61]                 // 000000008EA4: D1000034 00F269B2
	v_cndmask_b32_e64 v64, v178, v64, s[60:61]                 // 000000008EAC: D1000040 00F281B2
	v_cndmask_b32_e64 v53, v178, v53, s[60:61]                 // 000000008EB4: D1000035 00F26BB2
	v_cndmask_b32_e64 v65, v178, v65, s[60:61]                 // 000000008EBC: D1000041 00F283B2
	v_cndmask_b32_e64 v54, v178, v54, s[60:61]                 // 000000008EC4: D1000036 00F26DB2
	v_cndmask_b32_e64 v66, v178, v66, s[60:61]                 // 000000008ECC: D1000042 00F285B2
	v_cndmask_b32_e64 v55, v178, v55, s[60:61]                 // 000000008ED4: D1000037 00F26FB2
	v_cndmask_b32_e64 v67, v178, v67, s[60:61]                 // 000000008EDC: D1000043 00F287B2
	s_branch label_1479                                        // 000000008EE4: BF82001B

0000000000008ee8 <label_145E>:
	s_mov_b32 s60, 64                                          // 000000008EE8: BEBC00C0
	v_and_b32_e32 v32, 15, v0                                  // 000000008EEC: 2640008F
	v_add_u32_e64 v32, v32, s60                                // 000000008EF0: D1340020 00007920
	v_mul_i32_i24_e64 v33, s46, 16                             // 000000008EF8: D1060021 0001202E
	v_add_u32_e32 v32, v32, v33                                // 000000008F00: 68404320
	v_cmp_lt_u32_e64 s[60:61], v32, s101                       // 000000008F04: D0C9003C 0000CB20
	s_nop 1                                                    // 000000008F0C: BF800001
	v_cndmask_b32_e64 v56, v178, v56, s[60:61]                 // 000000008F10: D1000038 00F271B2
	v_cndmask_b32_e64 v68, v178, v68, s[60:61]                 // 000000008F18: D1000044 00F289B2
	v_cndmask_b32_e64 v57, v178, v57, s[60:61]                 // 000000008F20: D1000039 00F273B2
	v_cndmask_b32_e64 v69, v178, v69, s[60:61]                 // 000000008F28: D1000045 00F28BB2
	v_cndmask_b32_e64 v58, v178, v58, s[60:61]                 // 000000008F30: D100003A 00F275B2
	v_cndmask_b32_e64 v70, v178, v70, s[60:61]                 // 000000008F38: D1000046 00F28DB2
	v_cndmask_b32_e64 v59, v178, v59, s[60:61]                 // 000000008F40: D100003B 00F277B2
	v_cndmask_b32_e64 v71, v178, v71, s[60:61]                 // 000000008F48: D1000047 00F28FB2
	s_branch label_149E                                        // 000000008F50: BF820025

0000000000008f54 <label_1479>:
	v_mov_b32_e32 v56, v178                                    // 000000008F54: 7E7003B2
	v_mov_b32_e32 v68, v178                                    // 000000008F58: 7E8803B2
	v_mov_b32_e32 v57, v178                                    // 000000008F5C: 7E7203B2
	v_mov_b32_e32 v69, v178                                    // 000000008F60: 7E8A03B2
	v_mov_b32_e32 v58, v178                                    // 000000008F64: 7E7403B2
	v_mov_b32_e32 v70, v178                                    // 000000008F68: 7E8C03B2
	v_mov_b32_e32 v59, v178                                    // 000000008F6C: 7E7603B2
	v_mov_b32_e32 v71, v178                                    // 000000008F70: 7E8E03B2
	s_branch label_149E                                        // 000000008F74: BF82001C

0000000000008f78 <label_1482>:
	s_mov_b32 s60, 0x80                                        // 000000008F78: BEBC00FF 00000080
	v_and_b32_e32 v32, 15, v0                                  // 000000008F80: 2640008F
	v_add_u32_e64 v32, v32, s60                                // 000000008F84: D1340020 00007920
	v_mul_i32_i24_e64 v33, s46, 16                             // 000000008F8C: D1060021 0001202E
	v_add_u32_e32 v32, v32, v33                                // 000000008F94: 68404320
	v_cmp_lt_u32_e64 s[60:61], v32, s101                       // 000000008F98: D0C9003C 0000CB20
	s_nop 1                                                    // 000000008FA0: BF800001
	v_cndmask_b32_e64 v60, v178, v60, s[60:61]                 // 000000008FA4: D100003C 00F279B2
	v_cndmask_b32_e64 v72, v178, v72, s[60:61]                 // 000000008FAC: D1000048 00F291B2
	v_cndmask_b32_e64 v61, v178, v61, s[60:61]                 // 000000008FB4: D100003D 00F27BB2
	v_cndmask_b32_e64 v73, v178, v73, s[60:61]                 // 000000008FBC: D1000049 00F293B2
	v_cndmask_b32_e64 v62, v178, v62, s[60:61]                 // 000000008FC4: D100003E 00F27DB2
	v_cndmask_b32_e64 v74, v178, v74, s[60:61]                 // 000000008FCC: D100004A 00F295B2
	v_cndmask_b32_e64 v63, v178, v63, s[60:61]                 // 000000008FD4: D100003F 00F27FB2
	v_cndmask_b32_e64 v75, v178, v75, s[60:61]                 // 000000008FDC: D100004B 00F297B2
	s_branch label_14A7                                        // 000000008FE4: BF820009

0000000000008fe8 <label_149E>:
	v_mov_b32_e32 v60, v178                                    // 000000008FE8: 7E7803B2
	v_mov_b32_e32 v72, v178                                    // 000000008FEC: 7E9003B2
	v_mov_b32_e32 v61, v178                                    // 000000008FF0: 7E7A03B2
	v_mov_b32_e32 v73, v178                                    // 000000008FF4: 7E9203B2
	v_mov_b32_e32 v62, v178                                    // 000000008FF8: 7E7C03B2
	v_mov_b32_e32 v74, v178                                    // 000000008FFC: 7E9403B2
	v_mov_b32_e32 v63, v178                                    // 000000009000: 7E7E03B2
	v_mov_b32_e32 v75, v178                                    // 000000009004: 7E9603B2
	s_branch label_14A7                                        // 000000009008: BF820000

000000000000900c <label_14A7>:
	s_addk_i32 s74, 0x1                                        // 00000000900C: B74A0001
	s_waitcnt lgkmcnt(8)                                       // 000000009010: BF8CC87F
	s_barrier                                                  // 000000009014: BF8A0000
	v_mfma_f32_16x16x16_f16 v[76:79], v[108:109], a[72:73], 0  // 000000009018: D3CD004C 1202916C
	v_fma_f32 v52, v52, s57, -v140                             // 000000009020: D1CB0034 86307334
	v_fma_f32 v53, v53, s57, -v141                             // 000000009028: D1CB0035 86347335
	v_fma_f32 v54, v54, s57, -v142                             // 000000009030: D1CB0036 86387336
	v_fma_f32 v55, v55, s57, -v143                             // 000000009038: D1CB0037 863C7337
	v_fma_f32 v56, v56, s57, -v140                             // 000000009040: D1CB0038 86307338
	v_fma_f32 v57, v57, s57, -v141                             // 000000009048: D1CB0039 86347339
	v_mfma_f32_16x16x16_f16 v[76:79], v[110:111], a[74:75], v[76:79]// 000000009050: D3CD004C 1532956E
	ds_read_b128 a[96:99], v14 offset:4352                     // 000000009058: DBFE1100 6000000E
	ds_read_b128 a[100:103], v14 offset:4864                   // 000000009060: DBFE1300 6400000E
	v_mfma_f32_16x16x16_f16 v[76:79], v[112:113], a[76:77], v[76:79]// 000000009068: D3CD004C 15329970
	v_fma_f32 v58, v58, s57, -v142                             // 000000009070: D1CB003A 8638733A
	v_fma_f32 v59, v59, s57, -v143                             // 000000009078: D1CB003B 863C733B
	v_fma_f32 v60, v60, s57, -v140                             // 000000009080: D1CB003C 8630733C
	v_fma_f32 v61, v61, s57, -v141                             // 000000009088: D1CB003D 8634733D
	v_fma_f32 v62, v62, s57, -v142                             // 000000009090: D1CB003E 8638733E
	v_fma_f32 v63, v63, s57, -v143                             // 000000009098: D1CB003F 863C733F
	v_mfma_f32_16x16x16_f16 v[76:79], v[114:115], a[78:79], v[76:79]// 0000000090A0: D3CD004C 15329D72
	v_fma_f32 v64, v64, s57, -v144                             // 0000000090A8: D1CB0040 86407340
	v_fma_f32 v65, v65, s57, -v145                             // 0000000090B0: D1CB0041 86447341
	v_fma_f32 v66, v66, s57, -v146                             // 0000000090B8: D1CB0042 86487342
	v_fma_f32 v67, v67, s57, -v147                             // 0000000090C0: D1CB0043 864C7343
	v_fma_f32 v68, v68, s57, -v144                             // 0000000090C8: D1CB0044 86407344
	v_fma_f32 v69, v69, s57, -v145                             // 0000000090D0: D1CB0045 86447345
	v_mfma_f32_16x16x16_f16 v[80:83], v[108:109], a[80:81], 0  // 0000000090D8: D3CD0050 1202A16C
	v_fma_f32 v70, v70, s57, -v146                             // 0000000090E0: D1CB0046 86487346
	v_fma_f32 v71, v71, s57, -v147                             // 0000000090E8: D1CB0047 864C7347
	v_fma_f32 v72, v72, s57, -v144                             // 0000000090F0: D1CB0048 86407348
	v_fma_f32 v73, v73, s57, -v145                             // 0000000090F8: D1CB0049 86447349
	v_fma_f32 v74, v74, s57, -v146                             // 000000009100: D1CB004A 8648734A
	v_fma_f32 v75, v75, s57, -v147                             // 000000009108: D1CB004B 864C734B
	v_mfma_f32_16x16x16_f16 v[80:83], v[110:111], a[82:83], v[80:83]// 000000009110: D3CD0050 1542A56E
	ds_read_b128 a[104:107], v14 offset:6528                   // 000000009118: DBFE1980 6800000E
	ds_read_b128 a[108:111], v14 offset:7040                   // 000000009120: DBFE1B80 6C00000E
	v_mfma_f32_16x16x16_f16 v[80:83], v[112:113], a[84:85], v[80:83]// 000000009128: D3CD0050 1542A970
	v_exp_f32_e32 v52, v52                                     // 000000009130: 7E684134
	v_exp_f32_e32 v53, v53                                     // 000000009134: 7E6A4135
	v_mfma_f32_16x16x16_f16 v[80:83], v[114:115], a[86:87], v[80:83]// 000000009138: D3CD0050 1542AD72
	v_exp_f32_e32 v54, v54                                     // 000000009140: 7E6C4136
	v_exp_f32_e32 v55, v55                                     // 000000009144: 7E6E4137
	v_mfma_f32_16x16x16_f16 v[84:87], v[108:109], a[88:89], 0  // 000000009148: D3CD0054 1202B16C
	v_exp_f32_e32 v56, v56                                     // 000000009150: 7E704138
	v_exp_f32_e32 v57, v57                                     // 000000009154: 7E724139
	v_mfma_f32_16x16x16_f16 v[84:87], v[110:111], a[90:91], v[84:87]// 000000009158: D3CD0054 1552B56E
	ds_read_b64 v[156:157], v21 offset:31232                   // 000000009160: D8EC7A00 9C000015
	ds_read_b64 v[158:159], v21 offset:33280                   // 000000009168: D8EC8200 9E000015
	v_mfma_f32_16x16x16_f16 v[84:87], v[112:113], a[92:93], v[84:87]// 000000009170: D3CD0054 1552B970
	v_exp_f32_e32 v58, v58                                     // 000000009178: 7E74413A
	v_exp_f32_e32 v59, v59                                     // 00000000917C: 7E76413B
	v_mfma_f32_16x16x16_f16 v[84:87], v[114:115], a[94:95], v[84:87]// 000000009180: D3CD0054 1552BD72
	ds_read_b64 v[160:161], v21 offset:35328                   // 000000009188: D8EC8A00 A0000015
	ds_read_b64 v[162:163], v21 offset:37376                   // 000000009190: D8EC9200 A2000015
	v_mfma_f32_16x16x16_f16 v[88:91], v[116:117], a[72:73], 0  // 000000009198: D3CD0058 12029174
	v_exp_f32_e32 v60, v60                                     // 0000000091A0: 7E78413C
	v_exp_f32_e32 v61, v61                                     // 0000000091A4: 7E7A413D
	v_mfma_f32_16x16x16_f16 v[88:91], v[118:119], a[74:75], v[88:91]// 0000000091A8: D3CD0058 15629576
	v_exp_f32_e32 v62, v62                                     // 0000000091B0: 7E7C413E
	v_exp_f32_e32 v63, v63                                     // 0000000091B4: 7E7E413F
	v_mfma_f32_16x16x16_f16 v[88:91], v[120:121], a[76:77], v[88:91]// 0000000091B8: D3CD0058 15629978
	v_exp_f32_e32 v64, v64                                     // 0000000091C0: 7E804140
	v_exp_f32_e32 v65, v65                                     // 0000000091C4: 7E824141
	v_mfma_f32_16x16x16_f16 v[88:91], v[122:123], a[78:79], v[88:91]// 0000000091C8: D3CD0058 15629D7A
	v_exp_f32_e32 v66, v66                                     // 0000000091D0: 7E844142
	v_exp_f32_e32 v67, v67                                     // 0000000091D4: 7E864143
	v_mfma_f32_16x16x16_f16 v[92:95], v[116:117], a[80:81], 0  // 0000000091D8: D3CD005C 1202A174
	v_exp_f32_e32 v68, v68                                     // 0000000091E0: 7E884144
	v_exp_f32_e32 v69, v69                                     // 0000000091E4: 7E8A4145
	v_mfma_f32_16x16x16_f16 v[92:95], v[118:119], a[82:83], v[92:95]// 0000000091E8: D3CD005C 1572A576
	v_exp_f32_e32 v70, v70                                     // 0000000091F0: 7E8C4146
	v_exp_f32_e32 v71, v71                                     // 0000000091F4: 7E8E4147
	v_mfma_f32_16x16x16_f16 v[92:95], v[120:121], a[84:85], v[92:95]// 0000000091F8: D3CD005C 1572A978
	v_exp_f32_e32 v72, v72                                     // 000000009200: 7E904148
	v_exp_f32_e32 v73, v73                                     // 000000009204: 7E924149
	v_mfma_f32_16x16x16_f16 v[92:95], v[122:123], a[86:87], v[92:95]// 000000009208: D3CD005C 1572AD7A
	v_exp_f32_e32 v74, v74                                     // 000000009210: 7E94414A
	v_exp_f32_e32 v75, v75                                     // 000000009214: 7E96414B
	v_mfma_f32_16x16x16_f16 v[96:99], v[116:117], a[88:89], 0  // 000000009218: D3CD0060 1202B174
	v_cvt_pkrtz_f16_f32 v164, v52, v53                         // 000000009220: D29600A4 00026B34
	v_cvt_pkrtz_f16_f32 v165, v54, v55                         // 000000009228: D29600A5 00026F36
	v_cvt_pkrtz_f16_f32 v166, v56, v57                         // 000000009230: D29600A6 00027338
	v_cvt_pkrtz_f16_f32 v167, v58, v59                         // 000000009238: D29600A7 0002773A
	v_cvt_pkrtz_f16_f32 v168, v60, v61                         // 000000009240: D29600A8 00027B3C
	v_cvt_pkrtz_f16_f32 v169, v62, v63                         // 000000009248: D29600A9 00027F3E
	v_mfma_f32_16x16x16_f16 v[96:99], v[118:119], a[90:91], v[96:99]// 000000009250: D3CD0060 1582B576
	v_cvt_pkrtz_f16_f32 v170, v64, v65                         // 000000009258: D29600AA 00028340
	v_cvt_pkrtz_f16_f32 v171, v66, v67                         // 000000009260: D29600AB 00028742
	v_cvt_pkrtz_f16_f32 v172, v68, v69                         // 000000009268: D29600AC 00028B44
	v_cvt_pkrtz_f16_f32 v173, v70, v71                         // 000000009270: D29600AD 00028F46
	v_cvt_pkrtz_f16_f32 v174, v72, v73                         // 000000009278: D29600AE 00029348
	v_cvt_pkrtz_f16_f32 v175, v74, v75                         // 000000009280: D29600AF 0002974A
	v_mfma_f32_16x16x16_f16 v[96:99], v[120:121], a[92:93], v[96:99]// 000000009288: D3CD0060 1582B978
	v_add_u32_e32 v6, s66, v6                                  // 000000009290: 680C0C42
	v_add_u32_e32 v7, s66, v7                                  // 000000009294: 680E0E42
	v_add_u32_e32 v8, s66, v8                                  // 000000009298: 68101042
	v_add_u32_e32 v9, s66, v9                                  // 00000000929C: 68121242
	v_mfma_f32_16x16x16_f16 v[96:99], v[122:123], a[94:95], v[96:99]// 0000000092A0: D3CD0060 1582BD7A
	s_waitcnt lgkmcnt(0)                                       // 0000000092A8: BF8CC07F
	s_barrier                                                  // 0000000092AC: BF8A0000
	v_mfma_f32_16x16x16_f16 v[180:183], v[124:125], v[164:165], v[180:183]// 0000000092B0: D3CD00B4 06D3497C
	v_subrev_f32_dpp v76, v176, v76 quad_perm:[0,0,0,0] row_mask:0xf bank_mask:0xf// 0000000092B8: 069898FA FF0000B0
	v_subrev_f32_dpp v77, v176, v77 quad_perm:[1,1,1,1] row_mask:0xf bank_mask:0xf// 0000000092C0: 069A9AFA FF0055B0
	v_subrev_f32_dpp v78, v176, v78 quad_perm:[2,2,2,2] row_mask:0xf bank_mask:0xf// 0000000092C8: 069C9CFA FF00AAB0
	v_subrev_f32_dpp v79, v176, v79 quad_perm:[3,3,3,3] row_mask:0xf bank_mask:0xf// 0000000092D0: 069E9EFA FF00FFB0
	v_subrev_f32_dpp v80, v176, v80 quad_perm:[0,0,0,0] row_mask:0xf bank_mask:0xf// 0000000092D8: 06A0A0FA FF0000B0
	v_subrev_f32_dpp v81, v176, v81 quad_perm:[1,1,1,1] row_mask:0xf bank_mask:0xf// 0000000092E0: 06A2A2FA FF0055B0
	v_mfma_f32_16x16x16_f16 v[184:187], v[126:127], v[164:165], v[184:187]// 0000000092E8: D3CD00B8 06E3497E
	v_subrev_f32_dpp v82, v176, v82 quad_perm:[2,2,2,2] row_mask:0xf bank_mask:0xf// 0000000092F0: 06A4A4FA FF00AAB0
	v_subrev_f32_dpp v83, v176, v83 quad_perm:[3,3,3,3] row_mask:0xf bank_mask:0xf// 0000000092F8: 06A6A6FA FF00FFB0
	v_subrev_f32_dpp v84, v176, v84 quad_perm:[0,0,0,0] row_mask:0xf bank_mask:0xf// 000000009300: 06A8A8FA FF0000B0
	v_subrev_f32_dpp v85, v176, v85 quad_perm:[1,1,1,1] row_mask:0xf bank_mask:0xf// 000000009308: 06AAAAFA FF0055B0
	v_subrev_f32_dpp v86, v176, v86 quad_perm:[2,2,2,2] row_mask:0xf bank_mask:0xf// 000000009310: 06ACACFA FF00AAB0
	v_subrev_f32_dpp v87, v176, v87 quad_perm:[3,3,3,3] row_mask:0xf bank_mask:0xf// 000000009318: 06AEAEFA FF00FFB0
	v_mfma_f32_16x16x16_f16 v[188:191], v[128:129], v[164:165], v[188:191]// 000000009320: D3CD00BC 06F34980
	v_mul_f32_e32 v76, v52, v76                                // 000000009328: 0A989934
	v_mul_f32_e32 v77, v53, v77                                // 00000000932C: 0A9A9B35
	v_mul_f32_e32 v78, v54, v78                                // 000000009330: 0A9C9D36
	v_mul_f32_e32 v79, v55, v79                                // 000000009334: 0A9E9F37
	v_mul_f32_e32 v80, v56, v80                                // 000000009338: 0AA0A138
	v_mul_f32_e32 v81, v57, v81                                // 00000000933C: 0AA2A339
	v_mfma_f32_16x16x16_f16 v[192:195], v[130:131], v[164:165], v[192:195]// 000000009340: D3CD00C0 07034982
	v_mul_f32_e32 v82, v58, v82                                // 000000009348: 0AA4A53A
	v_mul_f32_e32 v83, v59, v83                                // 00000000934C: 0AA6A73B
	v_mul_f32_e32 v84, v60, v84                                // 000000009350: 0AA8A93C
	v_mul_f32_e32 v85, v61, v85                                // 000000009354: 0AAAAB3D
	v_mul_f32_e32 v86, v62, v86                                // 000000009358: 0AACAD3E
	v_mul_f32_e32 v87, v63, v87                                // 00000000935C: 0AAEAF3F
	v_mfma_f32_16x16x16_f16 v[196:199], v[124:125], v[166:167], v[196:199]// 000000009360: D3CD00C4 07134D7C
	v_cvt_pkrtz_f16_f32 v76, v76, v77                          // 000000009368: D296004C 00029B4C
	v_cvt_pkrtz_f16_f32 v77, v78, v79                          // 000000009370: D296004D 00029F4E
	v_cvt_pkrtz_f16_f32 v78, v80, v81                          // 000000009378: D296004E 0002A350
	v_cvt_pkrtz_f16_f32 v79, v82, v83                          // 000000009380: D296004F 0002A752
	v_cvt_pkrtz_f16_f32 v80, v84, v85                          // 000000009388: D2960050 0002AB54
	v_cvt_pkrtz_f16_f32 v81, v86, v87                          // 000000009390: D2960051 0002AF56
	v_mfma_f32_16x16x16_f16 v[200:203], v[126:127], v[166:167], v[200:203]// 000000009398: D3CD00C8 07234D7E
	v_mov_b32_dpp v18, v76 quad_perm:[1,0,3,2] row_mask:0xf bank_mask:0xf// 0000000093A0: 7E2402FA FF00B14C
	v_perm_b32 v52, v18, v76, v17                              // 0000000093A8: D1ED0034 04469912
	v_mov_b32_dpp v18, v77 quad_perm:[1,0,3,2] row_mask:0xf bank_mask:0xf// 0000000093B0: 7E2402FA FF00B14D
	v_perm_b32 v53, v18, v77, v17                              // 0000000093B8: D1ED0035 04469B12
	v_mov_b32_dpp v18, v78 quad_perm:[1,0,3,2] row_mask:0xf bank_mask:0xf// 0000000093C0: 7E2402FA FF00B14E
	v_perm_b32 v54, v18, v78, v17                              // 0000000093C8: D1ED0036 04469D12
	v_mfma_f32_16x16x16_f16 v[204:207], v[128:129], v[166:167], v[204:207]// 0000000093D0: D3CD00CC 07334D80
	ds_write_b32 v20, v52 offset:17408                         // 0000000093D8: D81A4400 00003414
	ds_write_b32 v20, v53 offset:17952                         // 0000000093E0: D81A4620 00003514
	v_mfma_f32_16x16x16_f16 v[208:211], v[130:131], v[166:167], v[208:211]// 0000000093E8: D3CD00D0 07434D82
	v_mov_b32_dpp v18, v79 quad_perm:[1,0,3,2] row_mask:0xf bank_mask:0xf// 0000000093F0: 7E2402FA FF00B14F
	v_perm_b32 v55, v18, v79, v17                              // 0000000093F8: D1ED0037 04469F12
	v_mov_b32_dpp v18, v80 quad_perm:[1,0,3,2] row_mask:0xf bank_mask:0xf// 000000009400: 7E2402FA FF00B150
	v_perm_b32 v56, v18, v80, v17                              // 000000009408: D1ED0038 0446A112
	v_mov_b32_dpp v18, v81 quad_perm:[1,0,3,2] row_mask:0xf bank_mask:0xf// 000000009410: 7E2402FA FF00B151
	v_perm_b32 v57, v18, v81, v17                              // 000000009418: D1ED0039 0446A312
	v_mfma_f32_16x16x16_f16 v[212:215], v[124:125], v[168:169], v[212:215]// 000000009420: D3CD00D4 0753517C
	ds_write_b32 v20, v54 offset:19712                         // 000000009428: D81A4D00 00003614
	ds_write_b32 v20, v55 offset:20256                         // 000000009430: D81A4F20 00003714
	v_mfma_f32_16x16x16_f16 v[216:219], v[126:127], v[168:169], v[216:219]// 000000009438: D3CD00D8 0763517E
	v_subrev_f32_dpp v88, v177, v88 quad_perm:[0,0,0,0] row_mask:0xf bank_mask:0xf// 000000009440: 06B0B0FA FF0000B1
	v_subrev_f32_dpp v89, v177, v89 quad_perm:[1,1,1,1] row_mask:0xf bank_mask:0xf// 000000009448: 06B2B2FA FF0055B1
	v_subrev_f32_dpp v90, v177, v90 quad_perm:[2,2,2,2] row_mask:0xf bank_mask:0xf// 000000009450: 06B4B4FA FF00AAB1
	v_subrev_f32_dpp v91, v177, v91 quad_perm:[3,3,3,3] row_mask:0xf bank_mask:0xf// 000000009458: 06B6B6FA FF00FFB1
	v_subrev_f32_dpp v92, v177, v92 quad_perm:[0,0,0,0] row_mask:0xf bank_mask:0xf// 000000009460: 06B8B8FA FF0000B1
	v_subrev_f32_dpp v93, v177, v93 quad_perm:[1,1,1,1] row_mask:0xf bank_mask:0xf// 000000009468: 06BABAFA FF0055B1
	v_mfma_f32_16x16x16_f16 v[220:223], v[128:129], v[168:169], v[220:223]// 000000009470: D3CD00DC 07735180
	ds_write_b32 v20, v56 offset:22016                         // 000000009478: D81A5600 00003814
	ds_write_b32 v20, v57 offset:22560                         // 000000009480: D81A5820 00003914
	v_mfma_f32_16x16x16_f16 v[224:227], v[130:131], v[168:169], v[224:227]// 000000009488: D3CD00E0 07835182
	v_subrev_f32_dpp v94, v177, v94 quad_perm:[2,2,2,2] row_mask:0xf bank_mask:0xf// 000000009490: 06BCBCFA FF00AAB1
	v_subrev_f32_dpp v95, v177, v95 quad_perm:[3,3,3,3] row_mask:0xf bank_mask:0xf// 000000009498: 06BEBEFA FF00FFB1
	v_subrev_f32_dpp v96, v177, v96 quad_perm:[0,0,0,0] row_mask:0xf bank_mask:0xf// 0000000094A0: 06C0C0FA FF0000B1
	v_subrev_f32_dpp v97, v177, v97 quad_perm:[1,1,1,1] row_mask:0xf bank_mask:0xf// 0000000094A8: 06C2C2FA FF0055B1
	v_subrev_f32_dpp v98, v177, v98 quad_perm:[2,2,2,2] row_mask:0xf bank_mask:0xf// 0000000094B0: 06C4C4FA FF00AAB1
	v_subrev_f32_dpp v99, v177, v99 quad_perm:[3,3,3,3] row_mask:0xf bank_mask:0xf// 0000000094B8: 06C6C6FA FF00FFB1
	v_mfma_f32_16x16x16_f16 v[180:183], v[132:133], v[170:171], v[180:183]// 0000000094C0: D3CD00B4 06D35584
	v_mul_f32_e32 v88, v64, v88                                // 0000000094C8: 0AB0B140
	v_mul_f32_e32 v89, v65, v89                                // 0000000094CC: 0AB2B341
	v_mul_f32_e32 v90, v66, v90                                // 0000000094D0: 0AB4B542
	v_mul_f32_e32 v91, v67, v91                                // 0000000094D4: 0AB6B743
	v_mul_f32_e32 v92, v68, v92                                // 0000000094D8: 0AB8B944
	v_mul_f32_e32 v93, v69, v93                                // 0000000094DC: 0ABABB45
	v_mfma_f32_16x16x16_f16 v[184:187], v[134:135], v[170:171], v[184:187]// 0000000094E0: D3CD00B8 06E35586
	v_mul_f32_e32 v94, v70, v94                                // 0000000094E8: 0ABCBD46
	v_mul_f32_e32 v95, v71, v95                                // 0000000094EC: 0ABEBF47
	v_mul_f32_e32 v96, v72, v96                                // 0000000094F0: 0AC0C148
	v_mul_f32_e32 v97, v73, v97                                // 0000000094F4: 0AC2C349
	v_mul_f32_e32 v98, v74, v98                                // 0000000094F8: 0AC4C54A
	v_mul_f32_e32 v99, v75, v99                                // 0000000094FC: 0AC6C74B
	v_mfma_f32_16x16x16_f16 v[188:191], v[136:137], v[170:171], v[188:191]// 000000009500: D3CD00BC 06F35588
	v_cvt_pkrtz_f16_f32 v82, v88, v89                          // 000000009508: D2960052 0002B358
	v_cvt_pkrtz_f16_f32 v83, v90, v91                          // 000000009510: D2960053 0002B75A
	v_cvt_pkrtz_f16_f32 v84, v92, v93                          // 000000009518: D2960054 0002BB5C
	v_cvt_pkrtz_f16_f32 v85, v94, v95                          // 000000009520: D2960055 0002BF5E
	v_cvt_pkrtz_f16_f32 v86, v96, v97                          // 000000009528: D2960056 0002C360
	v_cvt_pkrtz_f16_f32 v87, v98, v99                          // 000000009530: D2960057 0002C762
	v_mfma_f32_16x16x16_f16 v[192:195], v[138:139], v[170:171], v[192:195]// 000000009538: D3CD00C0 0703558A
	v_mov_b32_dpp v18, v82 quad_perm:[1,0,3,2] row_mask:0xf bank_mask:0xf// 000000009540: 7E2402FA FF00B152
	v_perm_b32 v58, v18, v82, v17                              // 000000009548: D1ED003A 0446A512
	v_mov_b32_dpp v18, v83 quad_perm:[1,0,3,2] row_mask:0xf bank_mask:0xf// 000000009550: 7E2402FA FF00B153
	v_perm_b32 v59, v18, v83, v17                              // 000000009558: D1ED003B 0446A712
	v_mov_b32_dpp v18, v84 quad_perm:[1,0,3,2] row_mask:0xf bank_mask:0xf// 000000009560: 7E2402FA FF00B154
	v_perm_b32 v60, v18, v84, v17                              // 000000009568: D1ED003C 0446A912
	v_mfma_f32_16x16x16_f16 v[196:199], v[132:133], v[172:173], v[196:199]// 000000009570: D3CD00C4 07135984
	ds_write_b32 v20, v58 offset:24320                         // 000000009578: D81A5F00 00003A14
	ds_write_b32 v20, v59 offset:24864                         // 000000009580: D81A6120 00003B14
	v_mfma_f32_16x16x16_f16 v[200:203], v[134:135], v[172:173], v[200:203]// 000000009588: D3CD00C8 07235986
	v_mov_b32_dpp v18, v85 quad_perm:[1,0,3,2] row_mask:0xf bank_mask:0xf// 000000009590: 7E2402FA FF00B155
	v_perm_b32 v61, v18, v85, v17                              // 000000009598: D1ED003D 0446AB12
	v_mov_b32_dpp v18, v86 quad_perm:[1,0,3,2] row_mask:0xf bank_mask:0xf// 0000000095A0: 7E2402FA FF00B156
	v_perm_b32 v62, v18, v86, v17                              // 0000000095A8: D1ED003E 0446AD12
	v_mov_b32_dpp v18, v87 quad_perm:[1,0,3,2] row_mask:0xf bank_mask:0xf// 0000000095B0: 7E2402FA FF00B157
	v_perm_b32 v63, v18, v87, v17                              // 0000000095B8: D1ED003F 0446AF12
	v_mfma_f32_16x16x16_f16 v[204:207], v[136:137], v[172:173], v[204:207]// 0000000095C0: D3CD00CC 07335988
	ds_write_b32 v20, v60 offset:26624                         // 0000000095C8: D81A6800 00003C14
	ds_write_b32 v20, v61 offset:27168                         // 0000000095D0: D81A6A20 00003D14
	ds_write_b32 v20, v62 offset:28928                         // 0000000095D8: D81A7100 00003E14
	ds_write_b32 v20, v63 offset:29472                         // 0000000095E0: D81A7320 00003F14
	v_mfma_f32_16x16x16_f16 v[208:211], v[138:139], v[172:173], v[208:211]// 0000000095E8: D3CD00D0 0743598A
	v_mfma_f32_16x16x16_f16 v[212:215], v[132:133], v[174:175], v[212:215]// 0000000095F0: D3CD00D4 07535D84
	ds_write_b32 v15, v100 offset:4352                         // 0000000095F8: D81A1100 0000640F
	ds_write_b32 v15, v101 offset:5408                         // 000000009600: D81A1520 0000650F
	v_mfma_f32_16x16x16_f16 v[216:219], v[134:135], v[174:175], v[216:219]// 000000009608: D3CD00D8 07635D86
	v_mfma_f32_16x16x16_f16 v[220:223], v[136:137], v[174:175], v[220:223]// 000000009610: D3CD00DC 07735D88
	ds_write_b32 v15, v102 offset:6528                         // 000000009618: D81A1980 0000660F
	ds_write_b32 v15, v103 offset:7584                         // 000000009620: D81A1DA0 0000670F
	v_mfma_f32_16x16x16_f16 v[224:227], v[138:139], v[174:175], v[224:227]// 000000009628: D3CD00E0 07835D8A
	s_nop 0                                                    // 000000009630: BF800000
	s_nop 0                                                    // 000000009634: BF800000
	;; [unrolled: 1-line block ×3, first 2 shown]
	s_barrier                                                  // 00000000963C: BF8A0000
	v_mfma_f32_16x16x16_f16 a[112:115], a[96:97], v[76:77], a[112:115]// 000000009640: D3CD8070 0DC29960
	ds_read_b32 v140, v23 offset:39424                         // 000000009648: D86C9A00 8C000017
	ds_read_b32 v144, v23 offset:39488                         // 000000009650: D86C9A40 90000017
	ds_read_b32 v176, v23 offset:39680                         // 000000009658: D86C9B00 B0000017
	ds_read_b32 v177, v23 offset:39744                         // 000000009660: D86C9B40 B1000017
	v_mfma_f32_16x16x16_f16 a[116:119], a[98:99], v[76:77], a[116:119]// 000000009668: D3CD8074 0DD29962
	buffer_atomic_add_f32 v156, v6, s[32:35], 0 idxen          // 000000009670: E1342000 80089C06
	v_mfma_f32_16x16x16_f16 a[120:123], a[100:101], v[76:77], a[120:123]// 000000009678: D3CD8078 0DE29964
	s_waitcnt lgkmcnt(8)                                       // 000000009680: BF8CC87F
	s_barrier                                                  // 000000009684: BF8A0000
	v_mfma_f32_16x16x16_f16 a[124:127], a[102:103], v[76:77], a[124:127]// 000000009688: D3CD807C 0DF29966
	v_mfma_f32_16x16x16_f16 a[128:131], a[96:97], v[78:79], a[128:131]// 000000009690: D3CD8080 0E029D60
	ds_read_b128 v[52:55], v19 offset:17408                    // 000000009698: D9FE4400 34000013
	v_mfma_f32_16x16x16_f16 a[132:135], a[98:99], v[78:79], a[132:135]// 0000000096A0: D3CD8084 0E129D62
	v_mfma_f32_16x16x16_f16 a[136:139], a[100:101], v[78:79], a[136:139]// 0000000096A8: D3CD8088 0E229D64
	ds_read_b128 v[56:59], v19 offset:18560                    // 0000000096B0: D9FE4880 38000013
	v_mfma_f32_16x16x16_f16 a[140:143], a[102:103], v[78:79], a[140:143]// 0000000096B8: D3CD808C 0E329D66
	buffer_atomic_add_f32 v157, v7, s[32:35], 0 idxen          // 0000000096C0: E1342000 80089D07
	v_mfma_f32_16x16x16_f16 a[144:147], a[96:97], v[80:81], a[144:147]// 0000000096C8: D3CD8090 0E42A160
	ds_read_b128 v[60:63], v19 offset:19712                    // 0000000096D0: D9FE4D00 3C000013
	v_mfma_f32_16x16x16_f16 a[148:151], a[98:99], v[80:81], a[148:151]// 0000000096D8: D3CD8094 0E52A162
	v_mfma_f32_16x16x16_f16 a[152:155], a[100:101], v[80:81], a[152:155]// 0000000096E0: D3CD8098 0E62A164
	ds_read_b128 v[64:67], v19 offset:20864                    // 0000000096E8: D9FE5180 40000013
	v_mfma_f32_16x16x16_f16 a[156:159], a[102:103], v[80:81], a[156:159]// 0000000096F0: D3CD809C 0E72A166
	v_mfma_f32_16x16x16_f16 a[112:115], a[104:105], v[82:83], a[112:115]// 0000000096F8: D3CD8070 0DC2A568
	ds_read_b128 v[68:71], v19 offset:22016                    // 000000009700: D9FE5600 44000013
	v_mfma_f32_16x16x16_f16 a[116:119], a[106:107], v[82:83], a[116:119]// 000000009708: D3CD8074 0DD2A56A
	buffer_atomic_add_f32 v158, v6, s[32:35], 0 idxen offset:128// 000000009710: E1342080 80089E06
	v_mfma_f32_16x16x16_f16 a[120:123], a[108:109], v[82:83], a[120:123]// 000000009718: D3CD8078 0DE2A56C
	ds_read_b128 v[72:75], v19 offset:23168                    // 000000009720: D9FE5A80 48000013
	v_mfma_f32_16x16x16_f16 a[124:127], a[110:111], v[82:83], a[124:127]// 000000009728: D3CD807C 0DF2A56E
	v_mfma_f32_16x16x16_f16 a[128:131], a[104:105], v[84:85], a[128:131]// 000000009730: D3CD8080 0E02A968
	ds_write_b32 v15, v104 offset:13056                        // 000000009738: D81A3300 0000680F
	v_mfma_f32_16x16x16_f16 a[132:135], a[106:107], v[84:85], a[132:135]// 000000009740: D3CD8084 0E12A96A
	v_mfma_f32_16x16x16_f16 a[136:139], a[108:109], v[84:85], a[136:139]// 000000009748: D3CD8088 0E22A96C
	ds_write_b32 v15, v105 offset:14112                        // 000000009750: D81A3720 0000690F
	v_mfma_f32_16x16x16_f16 a[140:143], a[110:111], v[84:85], a[140:143]// 000000009758: D3CD808C 0E32A96E
	buffer_atomic_add_f32 v159, v7, s[32:35], 0 idxen offset:128// 000000009760: E1342080 80089F07
	v_mfma_f32_16x16x16_f16 a[144:147], a[104:105], v[86:87], a[144:147]// 000000009768: D3CD8090 0E42AD68
	ds_write_b32 v15, v106 offset:15232                        // 000000009770: D81A3B80 00006A0F
	v_mfma_f32_16x16x16_f16 a[148:151], a[106:107], v[86:87], a[148:151]// 000000009778: D3CD8094 0E52AD6A
	v_mfma_f32_16x16x16_f16 a[152:155], a[108:109], v[86:87], a[152:155]// 000000009780: D3CD8098 0E62AD6C
	ds_write_b32 v15, v107 offset:16288                        // 000000009788: D81A3FA0 00006B0F
	v_mfma_f32_16x16x16_f16 a[156:159], a[110:111], v[86:87], a[156:159]// 000000009790: D3CD809C 0E72AD6E
	s_waitcnt vmcnt(8) lgkmcnt(4)                              // 000000009798: BF8C0478
	s_barrier                                                  // 00000000979C: BF8A0000
	v_mfma_f32_16x16x16_f16 v[148:151], v[52:53], a[24:25], 0  // 0000000097A0: D3CD0094 12023134
	ds_read_b128 a[96:99], v12                                 // 0000000097A8: DBFE0000 6000000C
	buffer_load_dword v36, v1, s[8:11], 0 idxen                // 0000000097B0: E0502000 80022401
	v_mfma_f32_16x16x16_f16 v[148:151], v[54:55], a[28:29], v[148:151]// 0000000097B8: D3CD0094 16523936
	v_mul_f32_e32 v140, s48, v140                              // 0000000097C0: 0B191830
	v_mul_f32_e32 v144, s48, v144                              // 0000000097C4: 0B212030
	s_nop 0                                                    // 0000000097C8: BF800000
	v_mfma_f32_16x16x16_f16 v[148:151], v[56:57], a[32:33], v[148:151]// 0000000097CC: D3CD0094 16524138
	ds_read_b128 a[100:103], v12 offset:512                    // 0000000097D4: DBFE0200 6400000C
	buffer_load_dword v37, v2, s[8:11], 0 idxen                // 0000000097DC: E0502000 80022502
	v_mfma_f32_16x16x16_f16 v[148:151], v[58:59], a[36:37], v[148:151]// 0000000097E4: D3CD0094 1652493A
	v_mfma_f32_16x16x16_f16 v[148:151], v[60:61], a[40:41], v[148:151]// 0000000097EC: D3CD0094 1652513C
	ds_read_b128 a[104:107], v12 offset:2176                   // 0000000097F4: DBFE0880 6800000C
	buffer_load_dword v38, v3, s[8:11], 0 idxen                // 0000000097FC: E0502000 80022603
	v_mfma_f32_16x16x16_f16 v[148:151], v[62:63], a[44:45], v[148:151]// 000000009804: D3CD0094 1652593E
	v_perm_b32 v100, v41, v40, s63                             // 00000000980C: D1ED0064 00FE5129
	v_perm_b32 v101, v41, v40, s64                             // 000000009814: D1ED0065 01025129
	v_mfma_f32_16x16x16_f16 v[148:151], v[64:65], a[48:49], v[148:151]// 00000000981C: D3CD0094 16526140
	ds_read_b128 a[108:111], v12 offset:2688                   // 000000009824: DBFE0A80 6C00000C
	buffer_load_dword v39, v4, s[8:11], 0 idxen                // 00000000982C: E0502000 80022704
	v_mfma_f32_16x16x16_f16 v[148:151], v[66:67], a[52:53], v[148:151]// 000000009834: D3CD0094 16526942
	v_perm_b32 v102, v43, v42, s63                             // 00000000983C: D1ED0066 00FE552B
	v_perm_b32 v103, v43, v42, s64                             // 000000009844: D1ED0067 0102552B
	v_mfma_f32_16x16x16_f16 v[148:151], v[68:69], a[56:57], v[148:151]// 00000000984C: D3CD0094 16527144
	ds_read_b128 v[108:111], v12 offset:8704                   // 000000009854: D9FE2200 6C00000C
	buffer_load_dword v44, v228, s[20:23], 0 idxen             // 00000000985C: E0502000 80052CE4
	v_mfma_f32_16x16x16_f16 v[148:151], v[70:71], a[60:61], v[148:151]// 000000009864: D3CD0094 16527946
	v_perm_b32 v104, v49, v48, s63                             // 00000000986C: D1ED0068 00FE6131
	v_perm_b32 v105, v49, v48, s64                             // 000000009874: D1ED0069 01026131
	v_mfma_f32_16x16x16_f16 v[148:151], v[72:73], a[64:65], v[148:151]// 00000000987C: D3CD0094 16528148
	ds_read_b128 v[112:115], v12 offset:9216                   // 000000009884: D9FE2400 7000000C
	buffer_load_dword v45, v229, s[20:23], 0 idxen             // 00000000988C: E0502000 80052DE5
	v_mfma_f32_16x16x16_f16 v[148:151], v[74:75], a[68:69], v[148:151]// 000000009894: D3CD0094 1652894A
	v_perm_b32 v106, v51, v50, s63                             // 00000000989C: D1ED006A 00FE6533
	v_perm_b32 v107, v51, v50, s64                             // 0000000098A4: D1ED006B 01026533
	v_mfma_f32_16x16x16_f16 v[152:155], v[52:53], a[26:27], 0  // 0000000098AC: D3CD0098 12023534
	ds_read_b128 v[116:119], v12 offset:10880                  // 0000000098B4: D9FE2A80 7400000C
	buffer_load_dword v46, v230, s[20:23], 0 idxen             // 0000000098BC: E0502000 80052EE6
	v_mfma_f32_16x16x16_f16 v[152:155], v[54:55], a[30:31], v[152:155]// 0000000098C4: D3CD0098 16623D36
	v_mov_b32_dpp v143, v140 quad_perm:[3,3,3,3] row_mask:0xf bank_mask:0xf// 0000000098CC: 7F1E02FA FF00FF8C
	v_mov_b32_dpp v142, v140 quad_perm:[2,2,2,2] row_mask:0xf bank_mask:0xf// 0000000098D4: 7F1C02FA FF00AA8C
	v_mov_b32_dpp v141, v140 quad_perm:[1,1,1,1] row_mask:0xf bank_mask:0xf// 0000000098DC: 7F1A02FA FF00558C
	v_mov_b32_dpp v140, v140 quad_perm:[0,0,0,0] row_mask:0xf bank_mask:0xf// 0000000098E4: 7F1802FA FF00008C
	v_mfma_f32_16x16x16_f16 v[152:155], v[56:57], a[34:35], v[152:155]// 0000000098EC: D3CD0098 16624538
	ds_read_b128 v[120:123], v12 offset:11392                  // 0000000098F4: D9FE2C80 7800000C
	buffer_load_dword v47, v231, s[20:23], 0 idxen             // 0000000098FC: E0502000 80052FE7
	v_mfma_f32_16x16x16_f16 v[152:155], v[58:59], a[38:39], v[152:155]// 000000009904: D3CD0098 16624D3A
	v_mov_b32_dpp v147, v144 quad_perm:[3,3,3,3] row_mask:0xf bank_mask:0xf// 00000000990C: 7F2602FA FF00FF90
	v_mov_b32_dpp v146, v144 quad_perm:[2,2,2,2] row_mask:0xf bank_mask:0xf// 000000009914: 7F2402FA FF00AA90
	v_mov_b32_dpp v145, v144 quad_perm:[1,1,1,1] row_mask:0xf bank_mask:0xf// 00000000991C: 7F2202FA FF005590
	v_mov_b32_dpp v144, v144 quad_perm:[0,0,0,0] row_mask:0xf bank_mask:0xf// 000000009924: 7F2002FA FF000090
	s_add_u32 s60, 0x80, s59                                   // 00000000992C: 803C3BFF 00000080
	v_mfma_f32_16x16x16_f16 v[152:155], v[60:61], a[42:43], v[152:155]// 000000009934: D3CD0098 1662553C
	buffer_load_dword v11, s[24:27], 0 idxen lds               // 00000000993C: E0512000 8006000B
	v_mfma_f32_16x16x16_f16 v[152:155], v[62:63], a[46:47], v[152:155]// 000000009944: D3CD0098 16625D3E
	s_cmp_lt_u32 s60, s58                                      // 00000000994C: BF0A3A3C
	s_cselect_b32 s68, s68, 0                                  // 000000009950: 85448044
	s_cselect_b32 s99, s99, 0                                  // 000000009954: 85638063
	;; [unrolled: 1-line block ×3, first 2 shown]
	v_mfma_f32_16x16x16_f16 v[152:155], v[64:65], a[50:51], v[152:155]// 00000000995C: D3CD0098 16626540
	v_add_u32_e32 v1, s68, v1                                  // 000000009964: 68020244
	v_add_u32_e32 v2, s68, v2                                  // 000000009968: 68040444
	v_add_u32_e32 v3, s68, v3                                  // 00000000996C: 68060644
	v_add_u32_e32 v4, s68, v4                                  // 000000009970: 68080844
	v_mfma_f32_16x16x16_f16 v[152:155], v[66:67], a[54:55], v[152:155]// 000000009974: D3CD0098 16626D42
	v_add_u32_e32 v228, s99, v228                              // 00000000997C: 69C9C863
	v_add_u32_e32 v229, s99, v229                              // 000000009980: 69CBCA63
	v_add_u32_e32 v230, s99, v230                              // 000000009984: 69CDCC63
	v_add_u32_e32 v231, s99, v231                              // 000000009988: 69CFCE63
	v_mfma_f32_16x16x16_f16 v[152:155], v[68:69], a[58:59], v[152:155]// 00000000998C: D3CD0098 16627544
	s_mov_b32 m0, s79                                          // 000000009994: BEFC004F
	v_add_u32_e32 v11, s69, v11                                // 000000009998: 68161645
	v_mfma_f32_16x16x16_f16 v[152:155], v[70:71], a[62:63], v[152:155]// 00000000999C: D3CD0098 16627D46
	s_cmp_ge_u32 s59, s73                                      // 0000000099A4: BF09493B
	s_cselect_b32 s66, s67, s66                                // 0000000099A8: 85424243
	v_mfma_f32_16x16x16_f16 v[152:155], v[72:73], a[66:67], v[152:155]// 0000000099AC: D3CD0098 16628548
	s_addk_i32 s59, 0x20                                       // 0000000099B4: B73B0020
	s_nop 0                                                    // 0000000099B8: BF800000
	s_cmp_lt_i32 s59, s58                                      // 0000000099BC: BF043A3B
	v_mfma_f32_16x16x16_f16 v[152:155], v[74:75], a[70:71], v[152:155]// 0000000099C0: D3CD0098 16628D4A
	s_cbranch_scc0 label_0EAE                                  // 0000000099C8: BF84F7A9
	s_branch label_0EB1                                        // 0000000099CC: BF82F7AB

00000000000099d0 <label_1718>:
	buffer_atomic_add_f32 v160, v8, s[32:35], 0 idxen          // 0000000099D0: E1342000 8008A008
	buffer_atomic_add_f32 v161, v9, s[32:35], 0 idxen          // 0000000099D8: E1342000 8008A109
	buffer_atomic_add_f32 v162, v8, s[32:35], 0 idxen offset:128// 0000000099E0: E1342080 8008A208
	buffer_atomic_add_f32 v163, v9, s[32:35], 0 idxen offset:128// 0000000099E8: E1342080 8008A309
	v_add_u32_e32 v6, s66, v6                                  // 0000000099F0: 680C0C42
	v_add_u32_e32 v7, s66, v7                                  // 0000000099F4: 680E0E42
	v_add_u32_e32 v8, s66, v8                                  // 0000000099F8: 68101042
	v_add_u32_e32 v9, s66, v9                                  // 0000000099FC: 68121242
	v_lshrrev_b32_e32 v32, 5, v0                               // 000000009A00: 20400085
	v_mul_i32_i24_e32 v27, 0x44, v32                           // 000000009A04: 0C3640FF 00000044
	v_and_b32_e32 v32, 31, v0                                  // 000000009A0C: 2640009F
	v_mul_i32_i24_e32 v33, 2, v32                              // 000000009A10: 0C424082
	v_add_u32_e32 v27, v33, v27                                // 000000009A14: 68363721
	s_mul_i32 s60, s46, 0x220                                  // 000000009A18: 923CFF2E 00000220
	v_add_u32_e32 v27, s60, v27                                // 000000009A20: 6836363C
	v_lshlrev_b32_e32 v27, 2, v27                              // 000000009A24: 24363682
	v_mul_f32_e32 v148, s47, v148                              // 000000009A28: 0B29282F
	v_mul_f32_e32 v149, s47, v149                              // 000000009A2C: 0B2B2A2F
	v_mul_f32_e32 v150, s47, v150                              // 000000009A30: 0B2D2C2F
	v_mul_f32_e32 v151, s47, v151                              // 000000009A34: 0B2F2E2F
	v_mul_f32_e32 v152, s47, v152                              // 000000009A38: 0B31302F
	v_mul_f32_e32 v153, s47, v153                              // 000000009A3C: 0B33322F
	v_mul_f32_e32 v154, s47, v154                              // 000000009A40: 0B35342F
	v_mul_f32_e32 v155, s47, v155                              // 000000009A44: 0B37362F
	ds_write_b64 v22, v[148:149] offset:31232                  // 000000009A48: D89A7A00 00009416
	ds_write_b64 v22, v[150:151] offset:31744                  // 000000009A50: D89A7C00 00009616
	ds_write_b64 v22, v[152:153] offset:32256                  // 000000009A58: D89A7E00 00009816
	ds_write_b64 v22, v[154:155] offset:32768                  // 000000009A60: D89A8000 00009A16
	s_waitcnt lgkmcnt(0)                                       // 000000009A68: BF8CC07F
	s_barrier                                                  // 000000009A6C: BF8A0000
	ds_read_b64 v[156:157], v21 offset:31232                   // 000000009A70: D8EC7A00 9C000015
	ds_read_b64 v[158:159], v21 offset:33280                   // 000000009A78: D8EC8200 9E000015
	ds_read_b64 v[160:161], v21 offset:35328                   // 000000009A80: D8EC8A00 A0000015
	ds_read_b64 v[162:163], v21 offset:37376                   // 000000009A88: D8EC9200 A2000015
	s_waitcnt lgkmcnt(0)                                       // 000000009A90: BF8CC07F
	s_barrier                                                  // 000000009A94: BF8A0000
	buffer_atomic_add_f32 v156, v6, s[32:35], 0 idxen          // 000000009A98: E1342000 80089C06
	buffer_atomic_add_f32 v157, v7, s[32:35], 0 idxen          // 000000009AA0: E1342000 80089D07
	buffer_atomic_add_f32 v158, v6, s[32:35], 0 idxen offset:128// 000000009AA8: E1342080 80089E06
	buffer_atomic_add_f32 v159, v7, s[32:35], 0 idxen offset:128// 000000009AB0: E1342080 80089F07
	buffer_atomic_add_f32 v160, v8, s[32:35], 0 idxen          // 000000009AB8: E1342000 8008A008
	buffer_atomic_add_f32 v161, v9, s[32:35], 0 idxen          // 000000009AC0: E1342000 8008A109
	buffer_atomic_add_f32 v162, v8, s[32:35], 0 idxen offset:128// 000000009AC8: E1342080 8008A208
	buffer_atomic_add_f32 v163, v9, s[32:35], 0 idxen offset:128// 000000009AD0: E1342080 8008A309
	v_lshrrev_b32_e32 v32, 3, v0                               // 000000009AD8: 20400083
	v_mul_i32_i24_e32 v26, 2, v32                              // 000000009ADC: 0C344082
	v_and_b32_e32 v32, 7, v0                                   // 000000009AE0: 26400087
	v_mul_i32_i24_e32 v33, 0x44, v32                           // 000000009AE4: 0C4240FF 00000044
	v_add_u32_e32 v26, v33, v26                                // 000000009AEC: 68343521
	s_mul_i32 s60, s46, 0x220                                  // 000000009AF0: 923CFF2E 00000220
	v_add_u32_e32 v26, s60, v26                                // 000000009AF8: 6834343C
	v_lshlrev_b32_e32 v26, 2, v26                              // 000000009AFC: 24343482
	v_accvgpr_read_b32 v32, a112                               // 000000009B00: D3D84020 18000170
	v_accvgpr_read_b32 v33, a113                               // 000000009B08: D3D84021 18000171
	v_mul_f32_e32 v32, s47, v32                                // 000000009B10: 0A40402F
	v_mul_f32_e32 v33, s47, v33                                // 000000009B14: 0A42422F
	v_cvt_pkrtz_f16_f32 v52, v32, v33                          // 000000009B18: D2960034 00024320
	v_accvgpr_read_b32 v32, a114                               // 000000009B20: D3D84020 18000172
	v_accvgpr_read_b32 v33, a115                               // 000000009B28: D3D84021 18000173
	v_mul_f32_e32 v32, s47, v32                                // 000000009B30: 0A40402F
	v_mul_f32_e32 v33, s47, v33                                // 000000009B34: 0A42422F
	v_cvt_pkrtz_f16_f32 v53, v32, v33                          // 000000009B38: D2960035 00024320
	v_accvgpr_read_b32 v32, a116                               // 000000009B40: D3D84020 18000174
	v_accvgpr_read_b32 v33, a117                               // 000000009B48: D3D84021 18000175
	v_mul_f32_e32 v32, s47, v32                                // 000000009B50: 0A40402F
	v_mul_f32_e32 v33, s47, v33                                // 000000009B54: 0A42422F
	v_cvt_pkrtz_f16_f32 v54, v32, v33                          // 000000009B58: D2960036 00024320
	v_accvgpr_read_b32 v32, a118                               // 000000009B60: D3D84020 18000176
	v_accvgpr_read_b32 v33, a119                               // 000000009B68: D3D84021 18000177
	v_mul_f32_e32 v32, s47, v32                                // 000000009B70: 0A40402F
	v_mul_f32_e32 v33, s47, v33                                // 000000009B74: 0A42422F
	v_cvt_pkrtz_f16_f32 v55, v32, v33                          // 000000009B78: D2960037 00024320
	v_accvgpr_read_b32 v32, a120                               // 000000009B80: D3D84020 18000178
	v_accvgpr_read_b32 v33, a121                               // 000000009B88: D3D84021 18000179
	v_mul_f32_e32 v32, s47, v32                                // 000000009B90: 0A40402F
	v_mul_f32_e32 v33, s47, v33                                // 000000009B94: 0A42422F
	v_cvt_pkrtz_f16_f32 v56, v32, v33                          // 000000009B98: D2960038 00024320
	v_accvgpr_read_b32 v32, a122                               // 000000009BA0: D3D84020 1800017A
	v_accvgpr_read_b32 v33, a123                               // 000000009BA8: D3D84021 1800017B
	v_mul_f32_e32 v32, s47, v32                                // 000000009BB0: 0A40402F
	v_mul_f32_e32 v33, s47, v33                                // 000000009BB4: 0A42422F
	v_cvt_pkrtz_f16_f32 v57, v32, v33                          // 000000009BB8: D2960039 00024320
	v_accvgpr_read_b32 v32, a124                               // 000000009BC0: D3D84020 1800017C
	v_accvgpr_read_b32 v33, a125                               // 000000009BC8: D3D84021 1800017D
	v_mul_f32_e32 v32, s47, v32                                // 000000009BD0: 0A40402F
	v_mul_f32_e32 v33, s47, v33                                // 000000009BD4: 0A42422F
	v_cvt_pkrtz_f16_f32 v58, v32, v33                          // 000000009BD8: D296003A 00024320
	v_accvgpr_read_b32 v32, a126                               // 000000009BE0: D3D84020 1800017E
	v_accvgpr_read_b32 v33, a127                               // 000000009BE8: D3D84021 1800017F
	v_mul_f32_e32 v32, s47, v32                                // 000000009BF0: 0A40402F
	v_mul_f32_e32 v33, s47, v33                                // 000000009BF4: 0A42422F
	v_cvt_pkrtz_f16_f32 v59, v32, v33                          // 000000009BF8: D296003B 00024320
	ds_write_b64 v27, v[52:53]                                 // 000000009C00: D89A0000 0000341B
	ds_write_b64 v27, v[54:55] offset:544                      // 000000009C08: D89A0220 0000361B
	ds_write_b64 v27, v[56:57] offset:1088                     // 000000009C10: D89A0440 0000381B
	ds_write_b64 v27, v[58:59] offset:1632                     // 000000009C18: D89A0660 00003A1B
	s_waitcnt lgkmcnt(0)                                       // 000000009C20: BF8CC07F
	s_barrier                                                  // 000000009C24: BF8A0000
	ds_read_b64 v[52:53], v26                                  // 000000009C28: D8EC0000 3400001A
	ds_read_b64 v[54:55], v26 offset:128                       // 000000009C30: D8EC0080 3600001A
	ds_read_b64 v[56:57], v26 offset:64                        // 000000009C38: D8EC0040 3800001A
	ds_read_b64 v[58:59], v26 offset:192                       // 000000009C40: D8EC00C0 3A00001A
	s_waitcnt lgkmcnt(0)                                       // 000000009C48: BF8CC07F
	s_mov_b32 s70, s52                                         // 000000009C4C: BEC60034
	buffer_store_dwordx4 v[52:55], v5, s[36:39], 0 idxen       // 000000009C50: E07C2000 80093405
	s_mul_i32 s60, 2, s70                                      // 000000009C58: 923C4682
	v_add_u32_e32 v5, s60, v5                                  // 000000009C5C: 680A0A3C
	buffer_store_dwordx4 v[56:59], v5, s[36:39], 0 idxen       // 000000009C60: E07C2000 80093805
	s_mul_i32 s60, 2, s70                                      // 000000009C68: 923C4682
	v_add_u32_e32 v5, s60, v5                                  // 000000009C6C: 680A0A3C
	s_mul_i32 s60, 12, s70                                     // 000000009C70: 923C468C
	v_add_u32_e32 v5, s60, v5                                  // 000000009C74: 680A0A3C
	s_barrier                                                  // 000000009C78: BF8A0000
	s_cmp_ge_i32 1, s72                                        // 000000009C7C: BF034881
	s_cbranch_scc1 label_1887                                  // 000000009C80: BF8500C2
	v_accvgpr_read_b32 v32, a128                               // 000000009C84: D3D84020 18000180
	v_accvgpr_read_b32 v33, a129                               // 000000009C8C: D3D84021 18000181
	v_mul_f32_e32 v32, s47, v32                                // 000000009C94: 0A40402F
	v_mul_f32_e32 v33, s47, v33                                // 000000009C98: 0A42422F
	v_cvt_pkrtz_f16_f32 v60, v32, v33                          // 000000009C9C: D296003C 00024320
	v_accvgpr_read_b32 v32, a130                               // 000000009CA4: D3D84020 18000182
	v_accvgpr_read_b32 v33, a131                               // 000000009CAC: D3D84021 18000183
	v_mul_f32_e32 v32, s47, v32                                // 000000009CB4: 0A40402F
	v_mul_f32_e32 v33, s47, v33                                // 000000009CB8: 0A42422F
	v_cvt_pkrtz_f16_f32 v61, v32, v33                          // 000000009CBC: D296003D 00024320
	v_accvgpr_read_b32 v32, a132                               // 000000009CC4: D3D84020 18000184
	v_accvgpr_read_b32 v33, a133                               // 000000009CCC: D3D84021 18000185
	v_mul_f32_e32 v32, s47, v32                                // 000000009CD4: 0A40402F
	v_mul_f32_e32 v33, s47, v33                                // 000000009CD8: 0A42422F
	v_cvt_pkrtz_f16_f32 v62, v32, v33                          // 000000009CDC: D296003E 00024320
	v_accvgpr_read_b32 v32, a134                               // 000000009CE4: D3D84020 18000186
	v_accvgpr_read_b32 v33, a135                               // 000000009CEC: D3D84021 18000187
	v_mul_f32_e32 v32, s47, v32                                // 000000009CF4: 0A40402F
	v_mul_f32_e32 v33, s47, v33                                // 000000009CF8: 0A42422F
	v_cvt_pkrtz_f16_f32 v63, v32, v33                          // 000000009CFC: D296003F 00024320
	v_accvgpr_read_b32 v32, a136                               // 000000009D04: D3D84020 18000188
	v_accvgpr_read_b32 v33, a137                               // 000000009D0C: D3D84021 18000189
	v_mul_f32_e32 v32, s47, v32                                // 000000009D14: 0A40402F
	v_mul_f32_e32 v33, s47, v33                                // 000000009D18: 0A42422F
	v_cvt_pkrtz_f16_f32 v64, v32, v33                          // 000000009D1C: D2960040 00024320
	v_accvgpr_read_b32 v32, a138                               // 000000009D24: D3D84020 1800018A
	v_accvgpr_read_b32 v33, a139                               // 000000009D2C: D3D84021 1800018B
	v_mul_f32_e32 v32, s47, v32                                // 000000009D34: 0A40402F
	v_mul_f32_e32 v33, s47, v33                                // 000000009D38: 0A42422F
	v_cvt_pkrtz_f16_f32 v65, v32, v33                          // 000000009D3C: D2960041 00024320
	v_accvgpr_read_b32 v32, a140                               // 000000009D44: D3D84020 1800018C
	v_accvgpr_read_b32 v33, a141                               // 000000009D4C: D3D84021 1800018D
	v_mul_f32_e32 v32, s47, v32                                // 000000009D54: 0A40402F
	v_mul_f32_e32 v33, s47, v33                                // 000000009D58: 0A42422F
	v_cvt_pkrtz_f16_f32 v66, v32, v33                          // 000000009D5C: D2960042 00024320
	v_accvgpr_read_b32 v32, a142                               // 000000009D64: D3D84020 1800018E
	v_accvgpr_read_b32 v33, a143                               // 000000009D6C: D3D84021 1800018F
	v_mul_f32_e32 v32, s47, v32                                // 000000009D74: 0A40402F
	v_mul_f32_e32 v33, s47, v33                                // 000000009D78: 0A42422F
	v_cvt_pkrtz_f16_f32 v67, v32, v33                          // 000000009D7C: D2960043 00024320
	ds_write_b64 v27, v[60:61] offset:8704                     // 000000009D84: D89A2200 00003C1B
	ds_write_b64 v27, v[62:63] offset:9248                     // 000000009D8C: D89A2420 00003E1B
	ds_write_b64 v27, v[64:65] offset:9792                     // 000000009D94: D89A2640 0000401B
	ds_write_b64 v27, v[66:67] offset:10336                    // 000000009D9C: D89A2860 0000421B
	s_waitcnt lgkmcnt(0)                                       // 000000009DA4: BF8CC07F
	s_barrier                                                  // 000000009DA8: BF8A0000
	ds_read_b64 v[60:61], v26 offset:8704                      // 000000009DAC: D8EC2200 3C00001A
	ds_read_b64 v[62:63], v26 offset:8832                      // 000000009DB4: D8EC2280 3E00001A
	ds_read_b64 v[64:65], v26 offset:8768                      // 000000009DBC: D8EC2240 4000001A
	ds_read_b64 v[66:67], v26 offset:8896                      // 000000009DC4: D8EC22C0 4200001A
	s_waitcnt lgkmcnt(0)                                       // 000000009DCC: BF8CC07F
	s_mov_b32 s70, s52                                         // 000000009DD0: BEC60034
	buffer_store_dwordx4 v[60:63], v5, s[36:39], 0 idxen       // 000000009DD4: E07C2000 80093C05
	s_mul_i32 s60, 2, s70                                      // 000000009DDC: 923C4682
	v_add_u32_e32 v5, s60, v5                                  // 000000009DE0: 680A0A3C
	buffer_store_dwordx4 v[64:67], v5, s[36:39], 0 idxen       // 000000009DE4: E07C2000 80094005
	s_mul_i32 s60, 2, s70                                      // 000000009DEC: 923C4682
	v_add_u32_e32 v5, s60, v5                                  // 000000009DF0: 680A0A3C
	s_mul_i32 s60, 12, s70                                     // 000000009DF4: 923C468C
	v_add_u32_e32 v5, s60, v5                                  // 000000009DF8: 680A0A3C
	s_barrier                                                  // 000000009DFC: BF8A0000
	s_cmp_ge_i32 2, s72                                        // 000000009E00: BF034882
	s_cbranch_scc1 label_1887                                  // 000000009E04: BF850061
	v_accvgpr_read_b32 v32, a144                               // 000000009E08: D3D84020 18000190
	v_accvgpr_read_b32 v33, a145                               // 000000009E10: D3D84021 18000191
	v_mul_f32_e32 v32, s47, v32                                // 000000009E18: 0A40402F
	v_mul_f32_e32 v33, s47, v33                                // 000000009E1C: 0A42422F
	v_cvt_pkrtz_f16_f32 v68, v32, v33                          // 000000009E20: D2960044 00024320
	v_accvgpr_read_b32 v32, a146                               // 000000009E28: D3D84020 18000192
	v_accvgpr_read_b32 v33, a147                               // 000000009E30: D3D84021 18000193
	v_mul_f32_e32 v32, s47, v32                                // 000000009E38: 0A40402F
	v_mul_f32_e32 v33, s47, v33                                // 000000009E3C: 0A42422F
	v_cvt_pkrtz_f16_f32 v69, v32, v33                          // 000000009E40: D2960045 00024320
	v_accvgpr_read_b32 v32, a148                               // 000000009E48: D3D84020 18000194
	v_accvgpr_read_b32 v33, a149                               // 000000009E50: D3D84021 18000195
	v_mul_f32_e32 v32, s47, v32                                // 000000009E58: 0A40402F
	v_mul_f32_e32 v33, s47, v33                                // 000000009E5C: 0A42422F
	v_cvt_pkrtz_f16_f32 v70, v32, v33                          // 000000009E60: D2960046 00024320
	v_accvgpr_read_b32 v32, a150                               // 000000009E68: D3D84020 18000196
	v_accvgpr_read_b32 v33, a151                               // 000000009E70: D3D84021 18000197
	v_mul_f32_e32 v32, s47, v32                                // 000000009E78: 0A40402F
	v_mul_f32_e32 v33, s47, v33                                // 000000009E7C: 0A42422F
	v_cvt_pkrtz_f16_f32 v71, v32, v33                          // 000000009E80: D2960047 00024320
	v_accvgpr_read_b32 v32, a152                               // 000000009E88: D3D84020 18000198
	v_accvgpr_read_b32 v33, a153                               // 000000009E90: D3D84021 18000199
	v_mul_f32_e32 v32, s47, v32                                // 000000009E98: 0A40402F
	v_mul_f32_e32 v33, s47, v33                                // 000000009E9C: 0A42422F
	v_cvt_pkrtz_f16_f32 v72, v32, v33                          // 000000009EA0: D2960048 00024320
	v_accvgpr_read_b32 v32, a154                               // 000000009EA8: D3D84020 1800019A
	v_accvgpr_read_b32 v33, a155                               // 000000009EB0: D3D84021 1800019B
	v_mul_f32_e32 v32, s47, v32                                // 000000009EB8: 0A40402F
	v_mul_f32_e32 v33, s47, v33                                // 000000009EBC: 0A42422F
	v_cvt_pkrtz_f16_f32 v73, v32, v33                          // 000000009EC0: D2960049 00024320
	v_accvgpr_read_b32 v32, a156                               // 000000009EC8: D3D84020 1800019C
	v_accvgpr_read_b32 v33, a157                               // 000000009ED0: D3D84021 1800019D
	v_mul_f32_e32 v32, s47, v32                                // 000000009ED8: 0A40402F
	v_mul_f32_e32 v33, s47, v33                                // 000000009EDC: 0A42422F
	v_cvt_pkrtz_f16_f32 v74, v32, v33                          // 000000009EE0: D296004A 00024320
	v_accvgpr_read_b32 v32, a158                               // 000000009EE8: D3D84020 1800019E
	v_accvgpr_read_b32 v33, a159                               // 000000009EF0: D3D84021 1800019F
	v_mul_f32_e32 v32, s47, v32                                // 000000009EF8: 0A40402F
	v_mul_f32_e32 v33, s47, v33                                // 000000009EFC: 0A42422F
	v_cvt_pkrtz_f16_f32 v75, v32, v33                          // 000000009F00: D296004B 00024320
	ds_write_b64 v27, v[68:69] offset:17408                    // 000000009F08: D89A4400 0000441B
	ds_write_b64 v27, v[70:71] offset:17952                    // 000000009F10: D89A4620 0000461B
	ds_write_b64 v27, v[72:73] offset:18496                    // 000000009F18: D89A4840 0000481B
	ds_write_b64 v27, v[74:75] offset:19040                    // 000000009F20: D89A4A60 00004A1B
	s_waitcnt lgkmcnt(0)                                       // 000000009F28: BF8CC07F
	s_barrier                                                  // 000000009F2C: BF8A0000
	ds_read_b64 v[68:69], v26 offset:17408                     // 000000009F30: D8EC4400 4400001A
	ds_read_b64 v[70:71], v26 offset:17536                     // 000000009F38: D8EC4480 4600001A
	ds_read_b64 v[72:73], v26 offset:17472                     // 000000009F40: D8EC4440 4800001A
	ds_read_b64 v[74:75], v26 offset:17600                     // 000000009F48: D8EC44C0 4A00001A
	s_waitcnt lgkmcnt(0)                                       // 000000009F50: BF8CC07F
	s_mov_b32 s70, s52                                         // 000000009F54: BEC60034
	buffer_store_dwordx4 v[68:71], v5, s[36:39], 0 idxen       // 000000009F58: E07C2000 80094405
	s_mul_i32 s60, 2, s70                                      // 000000009F60: 923C4682
	v_add_u32_e32 v5, s60, v5                                  // 000000009F64: 680A0A3C
	buffer_store_dwordx4 v[72:75], v5, s[36:39], 0 idxen       // 000000009F68: E07C2000 80094805
	s_mul_i32 s60, 2, s70                                      // 000000009F70: 923C4682
	v_add_u32_e32 v5, s60, v5                                  // 000000009F74: 680A0A3C
	s_mul_i32 s60, 12, s70                                     // 000000009F78: 923C468C
	v_add_u32_e32 v5, s60, v5                                  // 000000009F7C: 680A0A3C
	s_barrier                                                  // 000000009F80: BF8A0000
	s_cmp_ge_i32 3, s72                                        // 000000009F84: BF034883
	s_cbranch_scc1 label_1887                                  // 000000009F88: BF850000

0000000000009f8c <label_1887>:
	v_mov_b32_e32 v32, v180                                    // 000000009F8C: 7E4003B4
	v_mov_b32_e32 v33, v181                                    // 000000009F90: 7E4203B5
	v_cvt_pkrtz_f16_f32 v180, v32, v33                         // 000000009F94: D29600B4 00024320
	v_mov_b32_e32 v32, v182                                    // 000000009F9C: 7E4003B6
	v_mov_b32_e32 v33, v183                                    // 000000009FA0: 7E4203B7
	v_cvt_pkrtz_f16_f32 v181, v32, v33                         // 000000009FA4: D29600B5 00024320
	v_mov_b32_e32 v32, v184                                    // 000000009FAC: 7E4003B8
	v_mov_b32_e32 v33, v185                                    // 000000009FB0: 7E4203B9
	v_cvt_pkrtz_f16_f32 v182, v32, v33                         // 000000009FB4: D29600B6 00024320
	v_mov_b32_e32 v32, v186                                    // 000000009FBC: 7E4003BA
	v_mov_b32_e32 v33, v187                                    // 000000009FC0: 7E4203BB
	v_cvt_pkrtz_f16_f32 v183, v32, v33                         // 000000009FC4: D29600B7 00024320
	v_mov_b32_e32 v32, v188                                    // 000000009FCC: 7E4003BC
	v_mov_b32_e32 v33, v189                                    // 000000009FD0: 7E4203BD
	v_cvt_pkrtz_f16_f32 v184, v32, v33                         // 000000009FD4: D29600B8 00024320
	v_mov_b32_e32 v32, v190                                    // 000000009FDC: 7E4003BE
	v_mov_b32_e32 v33, v191                                    // 000000009FE0: 7E4203BF
	v_cvt_pkrtz_f16_f32 v185, v32, v33                         // 000000009FE4: D29600B9 00024320
	v_mov_b32_e32 v32, v192                                    // 000000009FEC: 7E4003C0
	v_mov_b32_e32 v33, v193                                    // 000000009FF0: 7E4203C1
	v_cvt_pkrtz_f16_f32 v186, v32, v33                         // 000000009FF4: D29600BA 00024320
	v_mov_b32_e32 v32, v194                                    // 000000009FFC: 7E4003C2
	v_mov_b32_e32 v33, v195                                    // 00000000A000: 7E4203C3
	v_cvt_pkrtz_f16_f32 v187, v32, v33                         // 00000000A004: D29600BB 00024320
	ds_write_b64 v27, v[180:181]                               // 00000000A00C: D89A0000 0000B41B
	ds_write_b64 v27, v[182:183] offset:544                    // 00000000A014: D89A0220 0000B61B
	ds_write_b64 v27, v[184:185] offset:1088                   // 00000000A01C: D89A0440 0000B81B
	ds_write_b64 v27, v[186:187] offset:1632                   // 00000000A024: D89A0660 0000BA1B
	s_waitcnt lgkmcnt(0)                                       // 00000000A02C: BF8CC07F
	s_barrier                                                  // 00000000A030: BF8A0000
	ds_read_b64 v[180:181], v26                                // 00000000A034: D8EC0000 B400001A
	ds_read_b64 v[182:183], v26 offset:128                     // 00000000A03C: D8EC0080 B600001A
	ds_read_b64 v[184:185], v26 offset:64                      // 00000000A044: D8EC0040 B800001A
	ds_read_b64 v[186:187], v26 offset:192                     // 00000000A04C: D8EC00C0 BA00001A
	s_waitcnt lgkmcnt(0)                                       // 00000000A054: BF8CC07F
	s_mov_b32 s70, s53                                         // 00000000A058: BEC60035
	buffer_store_dwordx4 v[180:183], v10, s[40:43], 0 idxen    // 00000000A05C: E07C2000 800AB40A
	s_mul_i32 s60, 2, s70                                      // 00000000A064: 923C4682
	v_add_u32_e32 v10, s60, v10                                // 00000000A068: 6814143C
	buffer_store_dwordx4 v[184:187], v10, s[40:43], 0 idxen    // 00000000A06C: E07C2000 800AB80A
	s_mul_i32 s60, 2, s70                                      // 00000000A074: 923C4682
	v_add_u32_e32 v10, s60, v10                                // 00000000A078: 6814143C
	s_mul_i32 s60, 12, s70                                     // 00000000A07C: 923C468C
	v_add_u32_e32 v10, s60, v10                                // 00000000A080: 6814143C
	s_cmp_ge_i32 1, s72                                        // 00000000A084: BF034881
	s_cbranch_scc1 label_1947                                  // 00000000A088: BF850080
	v_mov_b32_e32 v32, v196                                    // 00000000A08C: 7E4003C4
	v_mov_b32_e32 v33, v197                                    // 00000000A090: 7E4203C5
	v_cvt_pkrtz_f16_f32 v188, v32, v33                         // 00000000A094: D29600BC 00024320
	v_mov_b32_e32 v32, v198                                    // 00000000A09C: 7E4003C6
	v_mov_b32_e32 v33, v199                                    // 00000000A0A0: 7E4203C7
	v_cvt_pkrtz_f16_f32 v189, v32, v33                         // 00000000A0A4: D29600BD 00024320
	v_mov_b32_e32 v32, v200                                    // 00000000A0AC: 7E4003C8
	v_mov_b32_e32 v33, v201                                    // 00000000A0B0: 7E4203C9
	v_cvt_pkrtz_f16_f32 v190, v32, v33                         // 00000000A0B4: D29600BE 00024320
	v_mov_b32_e32 v32, v202                                    // 00000000A0BC: 7E4003CA
	v_mov_b32_e32 v33, v203                                    // 00000000A0C0: 7E4203CB
	v_cvt_pkrtz_f16_f32 v191, v32, v33                         // 00000000A0C4: D29600BF 00024320
	v_mov_b32_e32 v32, v204                                    // 00000000A0CC: 7E4003CC
	v_mov_b32_e32 v33, v205                                    // 00000000A0D0: 7E4203CD
	v_cvt_pkrtz_f16_f32 v192, v32, v33                         // 00000000A0D4: D29600C0 00024320
	v_mov_b32_e32 v32, v206                                    // 00000000A0DC: 7E4003CE
	v_mov_b32_e32 v33, v207                                    // 00000000A0E0: 7E4203CF
	v_cvt_pkrtz_f16_f32 v193, v32, v33                         // 00000000A0E4: D29600C1 00024320
	v_mov_b32_e32 v32, v208                                    // 00000000A0EC: 7E4003D0
	v_mov_b32_e32 v33, v209                                    // 00000000A0F0: 7E4203D1
	v_cvt_pkrtz_f16_f32 v194, v32, v33                         // 00000000A0F4: D29600C2 00024320
	v_mov_b32_e32 v32, v210                                    // 00000000A0FC: 7E4003D2
	v_mov_b32_e32 v33, v211                                    // 00000000A100: 7E4203D3
	v_cvt_pkrtz_f16_f32 v195, v32, v33                         // 00000000A104: D29600C3 00024320
	ds_write_b64 v27, v[188:189] offset:8704                   // 00000000A10C: D89A2200 0000BC1B
	ds_write_b64 v27, v[190:191] offset:9248                   // 00000000A114: D89A2420 0000BE1B
	ds_write_b64 v27, v[192:193] offset:9792                   // 00000000A11C: D89A2640 0000C01B
	ds_write_b64 v27, v[194:195] offset:10336                  // 00000000A124: D89A2860 0000C21B
	s_waitcnt lgkmcnt(0)                                       // 00000000A12C: BF8CC07F
	s_barrier                                                  // 00000000A130: BF8A0000
	ds_read_b64 v[188:189], v26 offset:8704                    // 00000000A134: D8EC2200 BC00001A
	ds_read_b64 v[190:191], v26 offset:8832                    // 00000000A13C: D8EC2280 BE00001A
	ds_read_b64 v[192:193], v26 offset:8768                    // 00000000A144: D8EC2240 C000001A
	ds_read_b64 v[194:195], v26 offset:8896                    // 00000000A14C: D8EC22C0 C200001A
	s_waitcnt lgkmcnt(0)                                       // 00000000A154: BF8CC07F
	s_mov_b32 s70, s53                                         // 00000000A158: BEC60035
	buffer_store_dwordx4 v[188:191], v10, s[40:43], 0 idxen    // 00000000A15C: E07C2000 800ABC0A
	s_mul_i32 s60, 2, s70                                      // 00000000A164: 923C4682
	v_add_u32_e32 v10, s60, v10                                // 00000000A168: 6814143C
	buffer_store_dwordx4 v[192:195], v10, s[40:43], 0 idxen    // 00000000A16C: E07C2000 800AC00A
	s_mul_i32 s60, 2, s70                                      // 00000000A174: 923C4682
	v_add_u32_e32 v10, s60, v10                                // 00000000A178: 6814143C
	s_mul_i32 s60, 12, s70                                     // 00000000A17C: 923C468C
	v_add_u32_e32 v10, s60, v10                                // 00000000A180: 6814143C
	s_cmp_ge_i32 2, s72                                        // 00000000A184: BF034882
	s_cbranch_scc1 label_1947                                  // 00000000A188: BF850040
	v_mov_b32_e32 v32, v212                                    // 00000000A18C: 7E4003D4
	v_mov_b32_e32 v33, v213                                    // 00000000A190: 7E4203D5
	v_cvt_pkrtz_f16_f32 v196, v32, v33                         // 00000000A194: D29600C4 00024320
	v_mov_b32_e32 v32, v214                                    // 00000000A19C: 7E4003D6
	v_mov_b32_e32 v33, v215                                    // 00000000A1A0: 7E4203D7
	v_cvt_pkrtz_f16_f32 v197, v32, v33                         // 00000000A1A4: D29600C5 00024320
	v_mov_b32_e32 v32, v216                                    // 00000000A1AC: 7E4003D8
	v_mov_b32_e32 v33, v217                                    // 00000000A1B0: 7E4203D9
	v_cvt_pkrtz_f16_f32 v198, v32, v33                         // 00000000A1B4: D29600C6 00024320
	v_mov_b32_e32 v32, v218                                    // 00000000A1BC: 7E4003DA
	v_mov_b32_e32 v33, v219                                    // 00000000A1C0: 7E4203DB
	v_cvt_pkrtz_f16_f32 v199, v32, v33                         // 00000000A1C4: D29600C7 00024320
	v_mov_b32_e32 v32, v220                                    // 00000000A1CC: 7E4003DC
	v_mov_b32_e32 v33, v221                                    // 00000000A1D0: 7E4203DD
	v_cvt_pkrtz_f16_f32 v200, v32, v33                         // 00000000A1D4: D29600C8 00024320
	v_mov_b32_e32 v32, v222                                    // 00000000A1DC: 7E4003DE
	v_mov_b32_e32 v33, v223                                    // 00000000A1E0: 7E4203DF
	v_cvt_pkrtz_f16_f32 v201, v32, v33                         // 00000000A1E4: D29600C9 00024320
	v_mov_b32_e32 v32, v224                                    // 00000000A1EC: 7E4003E0
	v_mov_b32_e32 v33, v225                                    // 00000000A1F0: 7E4203E1
	v_cvt_pkrtz_f16_f32 v202, v32, v33                         // 00000000A1F4: D29600CA 00024320
	v_mov_b32_e32 v32, v226                                    // 00000000A1FC: 7E4003E2
	v_mov_b32_e32 v33, v227                                    // 00000000A200: 7E4203E3
	v_cvt_pkrtz_f16_f32 v203, v32, v33                         // 00000000A204: D29600CB 00024320
	ds_write_b64 v27, v[196:197] offset:17408                  // 00000000A20C: D89A4400 0000C41B
	ds_write_b64 v27, v[198:199] offset:17952                  // 00000000A214: D89A4620 0000C61B
	ds_write_b64 v27, v[200:201] offset:18496                  // 00000000A21C: D89A4840 0000C81B
	ds_write_b64 v27, v[202:203] offset:19040                  // 00000000A224: D89A4A60 0000CA1B
	s_waitcnt lgkmcnt(0)                                       // 00000000A22C: BF8CC07F
	s_barrier                                                  // 00000000A230: BF8A0000
	ds_read_b64 v[196:197], v26 offset:17408                   // 00000000A234: D8EC4400 C400001A
	ds_read_b64 v[198:199], v26 offset:17536                   // 00000000A23C: D8EC4480 C600001A
	ds_read_b64 v[200:201], v26 offset:17472                   // 00000000A244: D8EC4440 C800001A
	ds_read_b64 v[202:203], v26 offset:17600                   // 00000000A24C: D8EC44C0 CA00001A
	s_waitcnt lgkmcnt(0)                                       // 00000000A254: BF8CC07F
	s_mov_b32 s70, s53                                         // 00000000A258: BEC60035
	buffer_store_dwordx4 v[196:199], v10, s[40:43], 0 idxen    // 00000000A25C: E07C2000 800AC40A
	s_mul_i32 s60, 2, s70                                      // 00000000A264: 923C4682
	v_add_u32_e32 v10, s60, v10                                // 00000000A268: 6814143C
	buffer_store_dwordx4 v[200:203], v10, s[40:43], 0 idxen    // 00000000A26C: E07C2000 800AC80A
	s_mul_i32 s60, 2, s70                                      // 00000000A274: 923C4682
	v_add_u32_e32 v10, s60, v10                                // 00000000A278: 6814143C
	s_mul_i32 s60, 12, s70                                     // 00000000A27C: 923C468C
	v_add_u32_e32 v10, s60, v10                                // 00000000A280: 6814143C
	s_cmp_ge_i32 3, s72                                        // 00000000A284: BF034883
	s_cbranch_scc1 label_1947                                  // 00000000A288: BF850000

000000000000a28c <label_1947>:
	s_waitcnt vmcnt(0) expcnt(0) lgkmcnt(0)                    // 00000000A28C: BF8C0000
	s_sub_i32 s60, s77, 1                                      // 00000000A290: 81BC814D
	s_sub_i32 s2, s60, s2                                      // 00000000A294: 8182023C
	s_addk_i32 s75, 0x1                                        // 00000000A298: B74B0001
	s_cmp_lt_i32 s75, s76                                      // 00000000A29C: BF044C4B
	s_cbranch_scc1 label_014A                                  // 00000000A2A0: BF85E821
	s_endpgm                                                   // 00000000A2A4: BF810000
